;; amdgpu-corpus repo=zjin-lcf/HeCBench kind=compiled arch=gfx1250 opt=O3
	.amdgcn_target "amdgcn-amd-amdhsa--gfx1250"
	.amdhsa_code_object_version 6
	.section	.text._Z30addBiasResidualPostLayerNormV2IfLi64EEvPT_PKS0_S3_S3_S3_fi,"axG",@progbits,_Z30addBiasResidualPostLayerNormV2IfLi64EEvPT_PKS0_S3_S3_S3_fi,comdat
	.protected	_Z30addBiasResidualPostLayerNormV2IfLi64EEvPT_PKS0_S3_S3_S3_fi ; -- Begin function _Z30addBiasResidualPostLayerNormV2IfLi64EEvPT_PKS0_S3_S3_S3_fi
	.globl	_Z30addBiasResidualPostLayerNormV2IfLi64EEvPT_PKS0_S3_S3_S3_fi
	.p2align	8
	.type	_Z30addBiasResidualPostLayerNormV2IfLi64EEvPT_PKS0_S3_S3_S3_fi,@function
_Z30addBiasResidualPostLayerNormV2IfLi64EEvPT_PKS0_S3_S3_S3_fi: ; @_Z30addBiasResidualPostLayerNormV2IfLi64EEvPT_PKS0_S3_S3_S3_fi
; %bb.0:
	s_clause 0x3
	s_load_b32 s4, s[0:1], 0x3c
	s_load_b64 s[6:7], s[0:1], 0x28
	s_load_b128 s[8:11], s[0:1], 0x0
	s_load_b64 s[2:3], s[0:1], 0x10
	s_bfe_u32 s5, ttmp6, 0x4000c
	s_and_b32 s12, ttmp6, 15
	s_add_co_i32 s5, s5, 1
	s_getreg_b32 s13, hwreg(HW_REG_IB_STS2, 6, 4)
	s_mul_i32 s5, ttmp9, s5
	v_dual_mov_b32 v3, 0 :: v_dual_lshlrev_b32 v2, 3, v0
	s_add_co_i32 s12, s12, s5
	s_wait_kmcnt 0x0
	s_and_b32 s14, s4, 0xffff
	s_cmp_eq_u32 s13, 0
	v_add_nc_u64_e32 v[6:7], s[2:3], v[2:3]
	s_cselect_b32 s4, ttmp9, s12
	s_delay_alu instid0(SALU_CYCLE_1) | instskip(NEXT) | instid1(SALU_CYCLE_1)
	s_mul_i32 s4, s7, s4
	s_lshr_b32 s5, s4, 31
	s_delay_alu instid0(SALU_CYCLE_1) | instskip(SKIP_2) | instid1(SALU_CYCLE_1)
	s_add_co_i32 s4, s4, s5
	s_mov_b32 s5, 0
	s_ashr_i32 s4, s4, 1
	v_add_nc_u32_e32 v4, s4, v0
	s_lshl_b32 s4, s14, 3
	s_delay_alu instid0(SALU_CYCLE_1) | instskip(NEXT) | instid1(VALU_DEP_2)
	v_add_nc_u64_e32 v[6:7], s[4:5], v[6:7]
	v_add_nc_u32_e32 v1, s14, v4
	s_delay_alu instid0(VALU_DEP_2) | instskip(NEXT) | instid1(VALU_DEP_2)
	v_add_nc_u64_e32 v[18:19], s[4:5], v[6:7]
	v_add_nc_u32_e32 v5, s14, v1
	s_clause 0x1
	global_load_b64 v[8:9], v4, s[8:9] scale_offset
	global_load_b64 v[10:11], v4, s[10:11] scale_offset
	;; [unrolled: 1-line block ×3, first 2 shown]
	s_clause 0x1
	global_load_b64 v[14:15], v1, s[8:9] scale_offset
	global_load_b64 v[16:17], v1, s[10:11] scale_offset
	global_load_b64 v[20:21], v[6:7], off
	s_clause 0x1
	global_load_b64 v[22:23], v5, s[8:9] scale_offset
	global_load_b64 v[24:25], v5, s[10:11] scale_offset
	s_wait_xcnt 0x3
	v_add_nc_u32_e32 v1, s14, v5
	s_wait_xcnt 0x2
	v_add_nc_u64_e32 v[6:7], s[4:5], v[18:19]
	global_load_b64 v[26:27], v[18:19], off
	s_wait_xcnt 0x1
	v_mbcnt_lo_u32_b32 v5, -1, 0
	s_add_nc_u64 s[4:5], s[0:1], 48
	s_clause 0x1
	global_load_b64 v[18:19], v1, s[8:9] scale_offset
	global_load_b64 v[28:29], v1, s[10:11] scale_offset
	global_load_b64 v[30:31], v[6:7], off
	s_wait_loadcnt 0xa
	s_wait_xcnt 0x0
	v_pk_add_f32 v[6:7], v[8:9], v[10:11]
	s_wait_loadcnt 0x9
	s_delay_alu instid0(VALU_DEP_1)
	v_pk_add_f32 v[8:9], v[6:7], v[12:13]
	s_wait_loadcnt 0x7
	v_pk_add_f32 v[6:7], v[14:15], v[16:17]
	s_wait_loadcnt 0x4
	v_pk_add_f32 v[12:13], v[22:23], v[24:25]
	v_pk_add_f32 v[10:11], v[8:9], 0 op_sel_hi:[1,0]
	s_delay_alu instid0(VALU_DEP_3) | instskip(SKIP_1) | instid1(VALU_DEP_2)
	v_pk_add_f32 v[6:7], v[6:7], v[20:21]
	v_xor_b32_e32 v20, 1, v5
	v_pk_add_f32 v[14:15], v[6:7], v[10:11]
	s_wait_loadcnt 0x3
	v_pk_add_f32 v[10:11], v[12:13], v[26:27]
	s_wait_loadcnt 0x1
	v_pk_add_f32 v[12:13], v[18:19], v[28:29]
	s_delay_alu instid0(VALU_DEP_2) | instskip(SKIP_1) | instid1(VALU_DEP_2)
	v_pk_add_f32 v[14:15], v[10:11], v[14:15]
	s_wait_loadcnt 0x0
	v_pk_add_f32 v[12:13], v[12:13], v[30:31]
	s_delay_alu instid0(VALU_DEP_1) | instskip(NEXT) | instid1(VALU_DEP_1)
	v_pk_add_f32 v[14:15], v[12:13], v[14:15]
	v_dual_add_f32 v15, v14, v15 :: v_dual_bitop2_b32 v14, 16, v5 bitop3:0x14
	v_or_b32_e32 v1, 32, v5
	s_delay_alu instid0(VALU_DEP_1) | instskip(SKIP_1) | instid1(VALU_DEP_4)
	v_cmp_gt_i32_e32 vcc_lo, 64, v1
	v_cndmask_b32_e32 v1, v5, v1, vcc_lo
	v_cmp_gt_i32_e32 vcc_lo, 64, v14
	v_cndmask_b32_e32 v14, v5, v14, vcc_lo
	s_delay_alu instid0(VALU_DEP_1)
	v_dual_lshlrev_b32 v14, 2, v14 :: v_dual_lshlrev_b32 v1, 2, v1
	ds_bpermute_b32 v16, v1, v15
	s_wait_dscnt 0x0
	v_add_f32_e32 v16, v15, v16
	ds_bpermute_b32 v17, v14, v16
	s_wait_dscnt 0x0
	v_add_f32_e32 v17, v16, v17
	v_xor_b32_e32 v16, 4, v5
	v_xor_b32_e32 v15, 8, v5
	s_delay_alu instid0(VALU_DEP_1) | instskip(SKIP_1) | instid1(VALU_DEP_4)
	v_cmp_gt_i32_e32 vcc_lo, 64, v15
	v_cndmask_b32_e32 v15, v5, v15, vcc_lo
	v_cmp_gt_i32_e32 vcc_lo, 64, v16
	v_cndmask_b32_e32 v16, v5, v16, vcc_lo
	s_delay_alu instid0(VALU_DEP_1)
	v_dual_lshlrev_b32 v16, 2, v16 :: v_dual_lshlrev_b32 v15, 2, v15
	ds_bpermute_b32 v18, v15, v17
	s_wait_dscnt 0x0
	v_add_f32_e32 v18, v17, v18
	ds_bpermute_b32 v19, v16, v18
	s_wait_dscnt 0x0
	v_dual_add_f32 v18, v18, v19 :: v_dual_bitop2_b32 v17, 2, v5 bitop3:0x14
	s_delay_alu instid0(VALU_DEP_1) | instskip(SKIP_2) | instid1(VALU_DEP_2)
	v_cmp_gt_i32_e32 vcc_lo, 64, v17
	v_cndmask_b32_e32 v17, v5, v17, vcc_lo
	v_cmp_gt_i32_e32 vcc_lo, 64, v20
	v_dual_lshlrev_b32 v17, 2, v17 :: v_dual_cndmask_b32 v5, v5, v20, vcc_lo
	ds_bpermute_b32 v19, v17, v18
	s_wait_dscnt 0x0
	v_dual_add_f32 v20, v18, v19 :: v_dual_lshlrev_b32 v18, 2, v5
	v_dual_lshrrev_b32 v19, 4, v0 :: v_dual_bitop2_b32 v5, 63, v0 bitop3:0x40
	ds_bpermute_b32 v21, v18, v20
	v_cmp_eq_u32_e64 s2, 0, v5
	s_and_saveexec_b32 s3, s2
	s_cbranch_execz .LBB0_2
; %bb.1:
	s_wait_dscnt 0x0
	v_add_f32_e32 v20, v20, v21
	ds_store_b32 v19, v20
.LBB0_2:
	s_or_b32 exec_lo, exec_lo, s3
	s_wait_dscnt 0x0
	s_barrier_signal -1
	s_barrier_wait -1
	s_load_b32 s5, s[4:5], 0xc
	v_lshlrev_b32_e32 v20, 2, v5
	s_wait_kmcnt 0x0
	s_bfe_u32 s3, s5, 0xa0006
	s_delay_alu instid0(SALU_CYCLE_1)
	v_cmp_gt_u32_e64 s3, s3, v0
	s_and_saveexec_b32 s4, s3
; %bb.3:
	ds_load_b32 v3, v20
; %bb.4:
	s_or_b32 exec_lo, exec_lo, s4
	s_wait_dscnt 0x0
	ds_bpermute_b32 v5, v1, v3
	v_cmp_eq_u32_e64 s4, 0, v0
	s_cvt_f32_i32 s7, s7
	s_wait_dscnt 0x0
	v_add_f32_e32 v3, v3, v5
	ds_bpermute_b32 v5, v14, v3
	s_wait_dscnt 0x0
	v_add_f32_e32 v3, v3, v5
	ds_bpermute_b32 v5, v15, v3
	;; [unrolled: 3-line block ×5, first 2 shown]
	s_and_saveexec_b32 s10, s4
	s_cbranch_execz .LBB0_6
; %bb.5:
	s_wait_dscnt 0x0
	v_add_f32_e32 v3, v3, v5
	s_delay_alu instid0(VALU_DEP_1) | instskip(SKIP_1) | instid1(VALU_DEP_2)
	v_div_scale_f32 v5, null, s7, s7, v3
	v_div_scale_f32 v23, vcc_lo, v3, s7, v3
	v_rcp_f32_e32 v21, v5
	v_nop
	s_delay_alu instid0(TRANS32_DEP_1) | instskip(NEXT) | instid1(VALU_DEP_1)
	v_fma_f32 v22, -v5, v21, 1.0
	v_fmac_f32_e32 v21, v22, v21
	s_delay_alu instid0(VALU_DEP_1) | instskip(NEXT) | instid1(VALU_DEP_1)
	v_mul_f32_e32 v22, v23, v21
	v_fma_f32 v24, -v5, v22, v23
	s_delay_alu instid0(VALU_DEP_1) | instskip(NEXT) | instid1(VALU_DEP_1)
	v_fmac_f32_e32 v22, v24, v21
	v_fma_f32 v5, -v5, v22, v23
	s_delay_alu instid0(VALU_DEP_1) | instskip(NEXT) | instid1(VALU_DEP_1)
	v_div_fmas_f32 v5, v5, v21, v22
	v_div_fixup_f32 v3, v5, s7, v3
	v_mov_b32_e32 v5, 0
	ds_store_b32 v5, v3 offset:68
.LBB0_6:
	s_or_b32 exec_lo, exec_lo, s10
	v_mov_b32_e32 v3, 0
	s_wait_dscnt 0x0
	s_barrier_signal -1
	s_barrier_wait -1
	ds_load_b32 v22, v3 offset:68
	s_wait_dscnt 0x0
	v_pk_add_f32 v[6:7], v[6:7], v[22:23] op_sel_hi:[1,0] neg_lo:[0,1] neg_hi:[0,1]
	v_pk_add_f32 v[8:9], v[8:9], v[22:23] op_sel_hi:[1,0] neg_lo:[0,1] neg_hi:[0,1]
	;; [unrolled: 1-line block ×4, first 2 shown]
	s_delay_alu instid0(VALU_DEP_4) | instskip(NEXT) | instid1(VALU_DEP_4)
	v_pk_mul_f32 v[24:25], v[6:7], v[6:7]
	v_pk_mul_f32 v[26:27], v[8:9], v[8:9]
	s_delay_alu instid0(VALU_DEP_4) | instskip(NEXT) | instid1(VALU_DEP_4)
	v_pk_mul_f32 v[28:29], v[10:11], v[10:11]
	v_pk_mul_f32 v[22:23], v[12:13], v[12:13]
	s_delay_alu instid0(VALU_DEP_3) | instskip(NEXT) | instid1(VALU_DEP_3)
	v_dual_add_f32 v5, v24, v25 :: v_dual_add_f32 v21, v26, v27
	v_add_f32_e32 v24, v28, v29
	s_delay_alu instid0(VALU_DEP_2) | instskip(NEXT) | instid1(VALU_DEP_1)
	v_dual_add_f32 v5, v21, v5 :: v_dual_add_f32 v21, v22, v23
	v_add_f32_e32 v5, v5, v24
	s_delay_alu instid0(VALU_DEP_1)
	v_add_f32_e32 v5, v5, v21
	ds_bpermute_b32 v21, v1, v5
	s_wait_dscnt 0x0
	v_add_f32_e32 v5, v5, v21
	ds_bpermute_b32 v21, v14, v5
	s_wait_dscnt 0x0
	;; [unrolled: 3-line block ×5, first 2 shown]
	v_dual_add_f32 v21, v5, v21 :: v_dual_ashrrev_i32 v5, 31, v4
	ds_bpermute_b32 v22, v18, v21
	s_and_saveexec_b32 s10, s2
	s_cbranch_execz .LBB0_8
; %bb.7:
	s_wait_dscnt 0x0
	v_add_f32_e32 v21, v21, v22
	ds_store_b32 v19, v21
.LBB0_8:
	s_or_b32 exec_lo, exec_lo, s10
	s_load_b128 s[12:15], s[0:1], 0x18
	s_wait_dscnt 0x0
	s_barrier_signal -1
	s_barrier_wait -1
	s_wait_xcnt 0x0
	s_and_saveexec_b32 s0, s3
; %bb.9:
	ds_load_b32 v3, v20
; %bb.10:
	s_or_b32 exec_lo, exec_lo, s0
	s_wait_dscnt 0x0
	ds_bpermute_b32 v1, v1, v3
	s_wait_dscnt 0x0
	v_add_f32_e32 v1, v3, v1
	ds_bpermute_b32 v3, v14, v1
	s_wait_dscnt 0x0
	v_add_f32_e32 v1, v1, v3
	ds_bpermute_b32 v3, v15, v1
	v_lshl_add_u64 v[14:15], v[4:5], 3, s[8:9]
	s_wait_dscnt 0x0
	v_add_f32_e32 v1, v1, v3
	ds_bpermute_b32 v3, v16, v1
	s_wait_dscnt 0x0
	v_add_f32_e32 v1, v1, v3
	ds_bpermute_b32 v3, v17, v1
	s_wait_dscnt 0x0
	v_add_f32_e32 v1, v1, v3
	ds_bpermute_b32 v3, v18, v1
	s_and_saveexec_b32 s0, s4
	s_cbranch_execz .LBB0_12
; %bb.11:
	s_wait_dscnt 0x0
	v_add_f32_e32 v1, v1, v3
	s_delay_alu instid0(VALU_DEP_1) | instskip(NEXT) | instid1(VALU_DEP_1)
	v_div_scale_f32 v3, null, s7, s7, v1
	v_rcp_f32_e32 v5, v3
	v_nop
	s_delay_alu instid0(TRANS32_DEP_1) | instskip(NEXT) | instid1(VALU_DEP_1)
	v_fma_f32 v16, -v3, v5, 1.0
	v_fmac_f32_e32 v5, v16, v5
	v_div_scale_f32 v17, vcc_lo, v1, s7, v1
	s_delay_alu instid0(VALU_DEP_1) | instskip(NEXT) | instid1(VALU_DEP_1)
	v_mul_f32_e32 v16, v17, v5
	v_fma_f32 v18, -v3, v16, v17
	s_delay_alu instid0(VALU_DEP_1) | instskip(NEXT) | instid1(VALU_DEP_1)
	v_fmac_f32_e32 v16, v18, v5
	v_fma_f32 v3, -v3, v16, v17
	s_delay_alu instid0(VALU_DEP_1) | instskip(NEXT) | instid1(VALU_DEP_1)
	v_div_fmas_f32 v3, v3, v5, v16
	v_div_fixup_f32 v1, v3, s7, v1
	s_delay_alu instid0(VALU_DEP_1) | instskip(NEXT) | instid1(VALU_DEP_1)
	v_add_f32_e32 v1, s6, v1
	v_mul_f32_e32 v3, 0x4b800000, v1
	v_cmp_gt_f32_e32 vcc_lo, 0x800000, v1
	s_delay_alu instid0(VALU_DEP_2) | instskip(NEXT) | instid1(VALU_DEP_1)
	v_cndmask_b32_e32 v1, v1, v3, vcc_lo
	v_rsq_f32_e32 v1, v1
	v_nop
	s_delay_alu instid0(TRANS32_DEP_1) | instskip(NEXT) | instid1(VALU_DEP_1)
	v_mul_f32_e32 v3, 0x45800000, v1
	v_dual_cndmask_b32 v1, v1, v3, vcc_lo :: v_dual_mov_b32 v3, 0
	ds_store_b32 v3, v1 offset:64
.LBB0_12:
	s_or_b32 exec_lo, exec_lo, s0
	s_and_b32 s2, 0xffff, s5
	s_wait_dscnt 0x0
	v_mov_b32_e32 v3, 0
	s_mov_b32 s1, 0
	s_lshl_b32 s0, s2, 3
	s_barrier_signal -1
	s_wait_kmcnt 0x0
	v_add_nc_u64_e32 v[16:17], s[12:13], v[2:3]
	v_add_nc_u64_e32 v[18:19], s[14:15], v[2:3]
	s_barrier_wait -1
	s_delay_alu instid0(VALU_DEP_2) | instskip(NEXT) | instid1(VALU_DEP_2)
	v_add_nc_u64_e32 v[16:17], s[0:1], v[16:17]
	v_add_nc_u64_e32 v[18:19], s[0:1], v[18:19]
	s_delay_alu instid0(VALU_DEP_2) | instskip(NEXT) | instid1(VALU_DEP_2)
	v_add_nc_u64_e32 v[20:21], s[0:1], v[16:17]
	v_add_nc_u64_e32 v[22:23], s[0:1], v[18:19]
	;; [unrolled: 3-line block ×3, first 2 shown]
	s_clause 0x1
	global_load_b64 v[28:29], v0, s[12:13] scale_offset
	global_load_b64 v[30:31], v0, s[14:15] scale_offset
	global_load_b64 v[32:33], v[16:17], off
	global_load_b64 v[34:35], v[18:19], off
	global_load_b64 v[36:37], v[20:21], off
	global_load_b64 v[38:39], v[22:23], off
	global_load_b64 v[40:41], v[24:25], off
	global_load_b64 v[42:43], v[26:27], off
	s_wait_xcnt 0x5
	v_add_nc_u32_e32 v16, s2, v4
	ds_load_b32 v0, v3 offset:64
	s_wait_dscnt 0x0
	v_pk_mul_f32 v[2:3], v[0:1], v[8:9] op_sel_hi:[0,1]
	v_pk_mul_f32 v[4:5], v[0:1], v[6:7] op_sel_hi:[0,1]
	;; [unrolled: 1-line block ×3, first 2 shown]
	v_add_nc_u32_e32 v8, s2, v16
	v_pk_mul_f32 v[0:1], v[0:1], v[12:13] op_sel_hi:[0,1]
	s_delay_alu instid0(VALU_DEP_2)
	v_add_nc_u32_e32 v9, s2, v8
	s_wait_loadcnt 0x6
	v_pk_fma_f32 v[2:3], v[2:3], v[28:29], v[30:31]
	s_wait_loadcnt 0x4
	v_pk_fma_f32 v[4:5], v[4:5], v[32:33], v[34:35]
	;; [unrolled: 2-line block ×4, first 2 shown]
	s_clause 0x3
	global_store_b64 v[14:15], v[2:3], off
	global_store_b64 v16, v[4:5], s[8:9] scale_offset
	global_store_b64 v8, v[6:7], s[8:9] scale_offset
	;; [unrolled: 1-line block ×3, first 2 shown]
	s_endpgm
	.section	.rodata,"a",@progbits
	.p2align	6, 0x0
	.amdhsa_kernel _Z30addBiasResidualPostLayerNormV2IfLi64EEvPT_PKS0_S3_S3_S3_fi
		.amdhsa_group_segment_fixed_size 72
		.amdhsa_private_segment_fixed_size 0
		.amdhsa_kernarg_size 304
		.amdhsa_user_sgpr_count 2
		.amdhsa_user_sgpr_dispatch_ptr 0
		.amdhsa_user_sgpr_queue_ptr 0
		.amdhsa_user_sgpr_kernarg_segment_ptr 1
		.amdhsa_user_sgpr_dispatch_id 0
		.amdhsa_user_sgpr_kernarg_preload_length 0
		.amdhsa_user_sgpr_kernarg_preload_offset 0
		.amdhsa_user_sgpr_private_segment_size 0
		.amdhsa_wavefront_size32 1
		.amdhsa_uses_dynamic_stack 0
		.amdhsa_enable_private_segment 0
		.amdhsa_system_sgpr_workgroup_id_x 1
		.amdhsa_system_sgpr_workgroup_id_y 0
		.amdhsa_system_sgpr_workgroup_id_z 0
		.amdhsa_system_sgpr_workgroup_info 0
		.amdhsa_system_vgpr_workitem_id 0
		.amdhsa_next_free_vgpr 44
		.amdhsa_next_free_sgpr 16
		.amdhsa_named_barrier_count 0
		.amdhsa_reserve_vcc 1
		.amdhsa_float_round_mode_32 0
		.amdhsa_float_round_mode_16_64 0
		.amdhsa_float_denorm_mode_32 3
		.amdhsa_float_denorm_mode_16_64 3
		.amdhsa_fp16_overflow 0
		.amdhsa_memory_ordered 1
		.amdhsa_forward_progress 1
		.amdhsa_inst_pref_size 16
		.amdhsa_round_robin_scheduling 0
		.amdhsa_exception_fp_ieee_invalid_op 0
		.amdhsa_exception_fp_denorm_src 0
		.amdhsa_exception_fp_ieee_div_zero 0
		.amdhsa_exception_fp_ieee_overflow 0
		.amdhsa_exception_fp_ieee_underflow 0
		.amdhsa_exception_fp_ieee_inexact 0
		.amdhsa_exception_int_div_zero 0
	.end_amdhsa_kernel
	.section	.text._Z30addBiasResidualPostLayerNormV2IfLi64EEvPT_PKS0_S3_S3_S3_fi,"axG",@progbits,_Z30addBiasResidualPostLayerNormV2IfLi64EEvPT_PKS0_S3_S3_S3_fi,comdat
.Lfunc_end0:
	.size	_Z30addBiasResidualPostLayerNormV2IfLi64EEvPT_PKS0_S3_S3_S3_fi, .Lfunc_end0-_Z30addBiasResidualPostLayerNormV2IfLi64EEvPT_PKS0_S3_S3_S3_fi
                                        ; -- End function
	.set _Z30addBiasResidualPostLayerNormV2IfLi64EEvPT_PKS0_S3_S3_S3_fi.num_vgpr, 44
	.set _Z30addBiasResidualPostLayerNormV2IfLi64EEvPT_PKS0_S3_S3_S3_fi.num_agpr, 0
	.set _Z30addBiasResidualPostLayerNormV2IfLi64EEvPT_PKS0_S3_S3_S3_fi.numbered_sgpr, 16
	.set _Z30addBiasResidualPostLayerNormV2IfLi64EEvPT_PKS0_S3_S3_S3_fi.num_named_barrier, 0
	.set _Z30addBiasResidualPostLayerNormV2IfLi64EEvPT_PKS0_S3_S3_S3_fi.private_seg_size, 0
	.set _Z30addBiasResidualPostLayerNormV2IfLi64EEvPT_PKS0_S3_S3_S3_fi.uses_vcc, 1
	.set _Z30addBiasResidualPostLayerNormV2IfLi64EEvPT_PKS0_S3_S3_S3_fi.uses_flat_scratch, 0
	.set _Z30addBiasResidualPostLayerNormV2IfLi64EEvPT_PKS0_S3_S3_S3_fi.has_dyn_sized_stack, 0
	.set _Z30addBiasResidualPostLayerNormV2IfLi64EEvPT_PKS0_S3_S3_S3_fi.has_recursion, 0
	.set _Z30addBiasResidualPostLayerNormV2IfLi64EEvPT_PKS0_S3_S3_S3_fi.has_indirect_call, 0
	.section	.AMDGPU.csdata,"",@progbits
; Kernel info:
; codeLenInByte = 2016
; TotalNumSgprs: 18
; NumVgprs: 44
; ScratchSize: 0
; MemoryBound: 0
; FloatMode: 240
; IeeeMode: 1
; LDSByteSize: 72 bytes/workgroup (compile time only)
; SGPRBlocks: 0
; VGPRBlocks: 2
; NumSGPRsForWavesPerEU: 18
; NumVGPRsForWavesPerEU: 44
; NamedBarCnt: 0
; Occupancy: 16
; WaveLimiterHint : 0
; COMPUTE_PGM_RSRC2:SCRATCH_EN: 0
; COMPUTE_PGM_RSRC2:USER_SGPR: 2
; COMPUTE_PGM_RSRC2:TRAP_HANDLER: 0
; COMPUTE_PGM_RSRC2:TGID_X_EN: 1
; COMPUTE_PGM_RSRC2:TGID_Y_EN: 0
; COMPUTE_PGM_RSRC2:TGID_Z_EN: 0
; COMPUTE_PGM_RSRC2:TIDIG_COMP_CNT: 0
	.section	.text._Z30addBiasResidualPostLayerNormV2IfLi32EEvPT_PKS0_S3_S3_S3_fi,"axG",@progbits,_Z30addBiasResidualPostLayerNormV2IfLi32EEvPT_PKS0_S3_S3_S3_fi,comdat
	.protected	_Z30addBiasResidualPostLayerNormV2IfLi32EEvPT_PKS0_S3_S3_S3_fi ; -- Begin function _Z30addBiasResidualPostLayerNormV2IfLi32EEvPT_PKS0_S3_S3_S3_fi
	.globl	_Z30addBiasResidualPostLayerNormV2IfLi32EEvPT_PKS0_S3_S3_S3_fi
	.p2align	8
	.type	_Z30addBiasResidualPostLayerNormV2IfLi32EEvPT_PKS0_S3_S3_S3_fi,@function
_Z30addBiasResidualPostLayerNormV2IfLi32EEvPT_PKS0_S3_S3_S3_fi: ; @_Z30addBiasResidualPostLayerNormV2IfLi32EEvPT_PKS0_S3_S3_S3_fi
; %bb.0:
	s_clause 0x3
	s_load_b32 s2, s[0:1], 0x3c
	s_load_b64 s[14:15], s[0:1], 0x28
	s_load_b128 s[8:11], s[0:1], 0x0
	s_load_b64 s[4:5], s[0:1], 0x10
	s_bfe_u32 s3, ttmp6, 0x4000c
	s_and_b32 s6, ttmp6, 15
	s_add_co_i32 s3, s3, 1
	s_getreg_b32 s7, hwreg(HW_REG_IB_STS2, 6, 4)
	s_mul_i32 s3, ttmp9, s3
	v_dual_mov_b32 v3, 0 :: v_dual_lshlrev_b32 v2, 3, v0
	s_add_co_i32 s6, s6, s3
	s_mov_b32 s13, 0
	v_mbcnt_lo_u32_b32 v5, -1, 0
	s_delay_alu instid0(VALU_DEP_1)
	v_xor_b32_e32 v1, 16, v5
	s_wait_kmcnt 0x0
	s_and_b32 s2, s2, 0xffff
	s_cmp_eq_u32 s7, 0
	v_add_nc_u64_e32 v[8:9], s[4:5], v[2:3]
	s_cselect_b32 s3, ttmp9, s6
	s_lshl_b32 s12, s2, 3
	s_mul_i32 s3, s15, s3
	v_cmp_gt_i32_e32 vcc_lo, 32, v1
	s_lshr_b32 s6, s3, 31
	s_delay_alu instid0(SALU_CYCLE_1) | instskip(SKIP_2) | instid1(SALU_CYCLE_1)
	s_add_co_i32 s3, s3, s6
	v_add_nc_u64_e32 v[10:11], s[12:13], v[8:9]
	s_ashr_i32 s3, s3, 1
	v_dual_cndmask_b32 v1, v5, v1 :: v_dual_add_nc_u32 v4, s3, v0
	s_delay_alu instid0(VALU_DEP_2) | instskip(NEXT) | instid1(VALU_DEP_2)
	v_add_nc_u64_e32 v[22:23], s[12:13], v[10:11]
	v_add_nc_u32_e32 v6, s2, v4
	s_delay_alu instid0(VALU_DEP_1)
	v_add_nc_u32_e32 v8, s2, v6
	s_clause 0x1
	global_load_b64 v[12:13], v4, s[8:9] scale_offset
	global_load_b64 v[14:15], v4, s[10:11] scale_offset
	;; [unrolled: 1-line block ×3, first 2 shown]
	s_clause 0x1
	global_load_b64 v[18:19], v6, s[8:9] scale_offset
	global_load_b64 v[20:21], v6, s[10:11] scale_offset
	global_load_b64 v[24:25], v[10:11], off
	s_clause 0x1
	global_load_b64 v[26:27], v8, s[8:9] scale_offset
	global_load_b64 v[28:29], v8, s[10:11] scale_offset
	s_wait_xcnt 0x2
	v_add_nc_u32_e32 v10, s2, v8
	global_load_b64 v[30:31], v[22:23], off
	s_wait_xcnt 0x0
	v_add_nc_u64_e32 v[22:23], s[12:13], v[22:23]
	v_xor_b32_e32 v11, 8, v5
	s_clause 0x1
	global_load_b64 v[32:33], v10, s[8:9] scale_offset
	global_load_b64 v[34:35], v10, s[10:11] scale_offset
	global_load_b64 v[36:37], v[22:23], off
	v_cmp_gt_i32_e32 vcc_lo, 32, v11
	v_dual_lshlrev_b32 v1, 2, v1 :: v_dual_cndmask_b32 v11, v5, v11, vcc_lo
	s_wait_loadcnt 0xa
	v_pk_add_f32 v[12:13], v[12:13], v[14:15]
	s_wait_loadcnt 0x9
	s_delay_alu instid0(VALU_DEP_1)
	v_pk_add_f32 v[14:15], v[12:13], v[16:17]
	s_wait_loadcnt 0x7
	v_pk_add_f32 v[12:13], v[18:19], v[20:21]
	s_wait_loadcnt 0x4
	v_pk_add_f32 v[18:19], v[26:27], v[28:29]
	v_pk_add_f32 v[16:17], v[14:15], 0 op_sel_hi:[1,0]
	s_delay_alu instid0(VALU_DEP_3) | instskip(SKIP_1) | instid1(VALU_DEP_2)
	v_pk_add_f32 v[12:13], v[12:13], v[24:25]
	v_lshrrev_b32_e32 v25, 3, v0
	v_pk_add_f32 v[20:21], v[12:13], v[16:17]
	s_wait_loadcnt 0x3
	v_pk_add_f32 v[16:17], v[18:19], v[30:31]
	s_wait_loadcnt 0x1
	v_pk_add_f32 v[18:19], v[32:33], v[34:35]
	s_delay_alu instid0(VALU_DEP_2) | instskip(SKIP_1) | instid1(VALU_DEP_2)
	v_pk_add_f32 v[20:21], v[16:17], v[20:21]
	s_wait_loadcnt 0x0
	v_pk_add_f32 v[18:19], v[18:19], v[36:37]
	s_delay_alu instid0(VALU_DEP_1) | instskip(NEXT) | instid1(VALU_DEP_1)
	v_pk_add_f32 v[20:21], v[18:19], v[20:21]
	v_dual_add_f32 v7, v20, v21 :: v_dual_lshlrev_b32 v20, 2, v11
	v_xor_b32_e32 v11, 4, v5
	ds_bpermute_b32 v9, v1, v7
	v_cmp_gt_i32_e32 vcc_lo, 32, v11
	s_wait_dscnt 0x0
	v_dual_cndmask_b32 v11, v5, v11, vcc_lo :: v_dual_add_f32 v7, v7, v9
	ds_bpermute_b32 v9, v20, v7
	v_dual_lshlrev_b32 v21, 2, v11 :: v_dual_bitop2_b32 v11, 2, v5 bitop3:0x14
	s_delay_alu instid0(VALU_DEP_1)
	v_cmp_gt_i32_e32 vcc_lo, 32, v11
	s_wait_dscnt 0x0
	v_add_f32_e32 v7, v7, v9
	ds_bpermute_b32 v9, v21, v7
	s_wait_dscnt 0x0
	v_dual_cndmask_b32 v11, v5, v11, vcc_lo :: v_dual_add_f32 v7, v7, v9
	s_delay_alu instid0(VALU_DEP_1) | instskip(SKIP_4) | instid1(VALU_DEP_1)
	v_dual_lshlrev_b32 v22, 2, v11 :: v_dual_bitop2_b32 v11, 1, v5 bitop3:0x14
	ds_bpermute_b32 v9, v22, v7
	v_cmp_gt_i32_e32 vcc_lo, 32, v11
	s_wait_dscnt 0x0
	v_dual_cndmask_b32 v5, v5, v11, vcc_lo :: v_dual_add_f32 v7, v7, v9
	v_dual_lshlrev_b32 v23, 2, v5 :: v_dual_bitop2_b32 v5, 31, v0 bitop3:0x40
	ds_bpermute_b32 v9, v23, v7
	v_cmp_eq_u32_e64 s4, 0, v5
	s_and_saveexec_b32 s3, s4
	s_cbranch_execz .LBB1_2
; %bb.1:
	s_wait_dscnt 0x0
	v_add_f32_e32 v7, v7, v9
	ds_store_b32 v25, v7
.LBB1_2:
	s_or_b32 exec_lo, exec_lo, s3
	s_lshr_b32 s2, s2, 5
	v_lshlrev_b32_e32 v24, 2, v5
	v_cmp_gt_u32_e64 s3, s2, v0
	s_wait_dscnt 0x0
	s_barrier_signal -1
	s_barrier_wait -1
	s_and_saveexec_b32 s2, s3
; %bb.3:
	ds_load_b32 v3, v24
; %bb.4:
	s_or_b32 exec_lo, exec_lo, s2
	s_wait_dscnt 0x0
	ds_bpermute_b32 v5, v1, v3
	v_cmp_eq_u32_e64 s2, 0, v0
	s_cvt_f32_i32 s10, s15
	s_wait_dscnt 0x0
	v_add_f32_e32 v3, v3, v5
	ds_bpermute_b32 v5, v20, v3
	s_wait_dscnt 0x0
	v_add_f32_e32 v3, v3, v5
	ds_bpermute_b32 v5, v21, v3
	;; [unrolled: 3-line block ×4, first 2 shown]
	s_and_saveexec_b32 s5, s2
	s_cbranch_execz .LBB1_6
; %bb.5:
	s_wait_dscnt 0x0
	v_add_f32_e32 v3, v3, v5
	s_delay_alu instid0(VALU_DEP_1) | instskip(NEXT) | instid1(VALU_DEP_1)
	v_div_scale_f32 v5, null, s10, s10, v3
	v_rcp_f32_e32 v7, v5
	v_nop
	s_delay_alu instid0(TRANS32_DEP_1) | instskip(NEXT) | instid1(VALU_DEP_1)
	v_fma_f32 v9, -v5, v7, 1.0
	v_fmac_f32_e32 v7, v9, v7
	v_div_scale_f32 v11, vcc_lo, v3, s10, v3
	s_delay_alu instid0(VALU_DEP_1) | instskip(NEXT) | instid1(VALU_DEP_1)
	v_mul_f32_e32 v9, v11, v7
	v_fma_f32 v26, -v5, v9, v11
	s_delay_alu instid0(VALU_DEP_1) | instskip(NEXT) | instid1(VALU_DEP_1)
	v_fmac_f32_e32 v9, v26, v7
	v_fma_f32 v5, -v5, v9, v11
	s_delay_alu instid0(VALU_DEP_1) | instskip(NEXT) | instid1(VALU_DEP_1)
	v_div_fmas_f32 v5, v5, v7, v9
	v_div_fixup_f32 v3, v5, s10, v3
	v_mov_b32_e32 v5, 0
	ds_store_b32 v5, v3 offset:132
.LBB1_6:
	s_or_b32 exec_lo, exec_lo, s5
	v_mov_b32_e32 v3, 0
	s_wait_dscnt 0x0
	s_barrier_signal -1
	s_barrier_wait -1
	ds_load_b32 v26, v3 offset:132
	v_ashrrev_i32_e32 v11, 31, v10
	s_wait_dscnt 0x0
	v_pk_add_f32 v[12:13], v[12:13], v[26:27] op_sel_hi:[1,0] neg_lo:[0,1] neg_hi:[0,1]
	v_pk_add_f32 v[14:15], v[14:15], v[26:27] op_sel_hi:[1,0] neg_lo:[0,1] neg_hi:[0,1]
	;; [unrolled: 1-line block ×4, first 2 shown]
	s_delay_alu instid0(VALU_DEP_4) | instskip(NEXT) | instid1(VALU_DEP_4)
	v_pk_mul_f32 v[28:29], v[12:13], v[12:13]
	v_pk_mul_f32 v[30:31], v[14:15], v[14:15]
	s_delay_alu instid0(VALU_DEP_4) | instskip(NEXT) | instid1(VALU_DEP_4)
	v_pk_mul_f32 v[32:33], v[16:17], v[16:17]
	v_pk_mul_f32 v[26:27], v[18:19], v[18:19]
	s_delay_alu instid0(VALU_DEP_3) | instskip(NEXT) | instid1(VALU_DEP_3)
	v_dual_add_f32 v5, v28, v29 :: v_dual_add_f32 v7, v30, v31
	v_add_f32_e32 v9, v32, v33
	s_delay_alu instid0(VALU_DEP_2) | instskip(NEXT) | instid1(VALU_DEP_1)
	v_dual_add_f32 v5, v7, v5 :: v_dual_add_f32 v7, v26, v27
	v_dual_add_f32 v5, v5, v9 :: v_dual_ashrrev_i32 v9, 31, v8
	s_delay_alu instid0(VALU_DEP_1)
	v_add_f32_e32 v5, v5, v7
	ds_bpermute_b32 v7, v1, v5
	s_wait_dscnt 0x0
	v_add_f32_e32 v5, v5, v7
	ds_bpermute_b32 v7, v20, v5
	s_wait_dscnt 0x0
	;; [unrolled: 3-line block ×4, first 2 shown]
	v_dual_add_f32 v26, v5, v7 :: v_dual_ashrrev_i32 v5, 31, v4
	v_ashrrev_i32_e32 v7, 31, v6
	ds_bpermute_b32 v27, v23, v26
	s_and_saveexec_b32 s5, s4
	s_cbranch_execz .LBB1_8
; %bb.7:
	s_wait_dscnt 0x0
	v_add_f32_e32 v26, v26, v27
	ds_store_b32 v25, v26
.LBB1_8:
	s_or_b32 exec_lo, exec_lo, s5
	s_load_b128 s[4:7], s[0:1], 0x18
	s_wait_dscnt 0x0
	s_barrier_signal -1
	s_barrier_wait -1
	s_wait_xcnt 0x0
	s_and_saveexec_b32 s0, s3
; %bb.9:
	ds_load_b32 v3, v24
; %bb.10:
	s_or_b32 exec_lo, exec_lo, s0
	s_wait_dscnt 0x0
	ds_bpermute_b32 v1, v1, v3
	v_lshl_add_u64 v[4:5], v[4:5], 3, s[8:9]
	v_lshl_add_u64 v[6:7], v[6:7], 3, s[8:9]
	;; [unrolled: 1-line block ×4, first 2 shown]
	s_wait_dscnt 0x0
	v_add_f32_e32 v1, v3, v1
	ds_bpermute_b32 v3, v20, v1
	s_wait_dscnt 0x0
	v_add_f32_e32 v1, v1, v3
	ds_bpermute_b32 v3, v21, v1
	;; [unrolled: 3-line block ×4, first 2 shown]
	s_and_saveexec_b32 s0, s2
	s_cbranch_execz .LBB1_12
; %bb.11:
	s_wait_dscnt 0x0
	v_add_f32_e32 v1, v1, v3
	s_delay_alu instid0(VALU_DEP_1) | instskip(SKIP_1) | instid1(VALU_DEP_2)
	v_div_scale_f32 v3, null, s10, s10, v1
	v_div_scale_f32 v22, vcc_lo, v1, s10, v1
	v_rcp_f32_e32 v20, v3
	v_nop
	s_delay_alu instid0(TRANS32_DEP_1) | instskip(NEXT) | instid1(VALU_DEP_1)
	v_fma_f32 v21, -v3, v20, 1.0
	v_fmac_f32_e32 v20, v21, v20
	s_delay_alu instid0(VALU_DEP_1) | instskip(NEXT) | instid1(VALU_DEP_1)
	v_mul_f32_e32 v21, v22, v20
	v_fma_f32 v23, -v3, v21, v22
	s_delay_alu instid0(VALU_DEP_1) | instskip(NEXT) | instid1(VALU_DEP_1)
	v_fmac_f32_e32 v21, v23, v20
	v_fma_f32 v3, -v3, v21, v22
	s_delay_alu instid0(VALU_DEP_1) | instskip(NEXT) | instid1(VALU_DEP_1)
	v_div_fmas_f32 v3, v3, v20, v21
	v_div_fixup_f32 v1, v3, s10, v1
	s_delay_alu instid0(VALU_DEP_1) | instskip(NEXT) | instid1(VALU_DEP_1)
	v_add_f32_e32 v1, s14, v1
	v_mul_f32_e32 v3, 0x4b800000, v1
	v_cmp_gt_f32_e32 vcc_lo, 0x800000, v1
	s_delay_alu instid0(VALU_DEP_2) | instskip(NEXT) | instid1(VALU_DEP_1)
	v_cndmask_b32_e32 v1, v1, v3, vcc_lo
	v_rsq_f32_e32 v1, v1
	v_nop
	s_delay_alu instid0(TRANS32_DEP_1) | instskip(NEXT) | instid1(VALU_DEP_1)
	v_mul_f32_e32 v3, 0x45800000, v1
	v_dual_cndmask_b32 v1, v1, v3, vcc_lo :: v_dual_mov_b32 v3, 0
	ds_store_b32 v3, v1 offset:128
.LBB1_12:
	s_or_b32 exec_lo, exec_lo, s0
	s_wait_dscnt 0x0
	v_mov_b32_e32 v3, 0
	s_barrier_signal -1
	s_barrier_wait -1
	s_wait_kmcnt 0x0
	s_delay_alu instid0(VALU_DEP_1) | instskip(SKIP_1) | instid1(VALU_DEP_2)
	v_add_nc_u64_e32 v[20:21], s[4:5], v[2:3]
	v_add_nc_u64_e32 v[22:23], s[6:7], v[2:3]
	;; [unrolled: 1-line block ×3, first 2 shown]
	s_delay_alu instid0(VALU_DEP_2) | instskip(NEXT) | instid1(VALU_DEP_2)
	v_add_nc_u64_e32 v[22:23], s[12:13], v[22:23]
	v_add_nc_u64_e32 v[24:25], s[12:13], v[20:21]
	s_delay_alu instid0(VALU_DEP_2) | instskip(NEXT) | instid1(VALU_DEP_2)
	v_add_nc_u64_e32 v[26:27], s[12:13], v[22:23]
	v_add_nc_u64_e32 v[28:29], s[12:13], v[24:25]
	s_delay_alu instid0(VALU_DEP_2)
	v_add_nc_u64_e32 v[30:31], s[12:13], v[26:27]
	s_clause 0x1
	global_load_b64 v[32:33], v0, s[4:5] scale_offset
	global_load_b64 v[34:35], v0, s[6:7] scale_offset
	global_load_b64 v[36:37], v[20:21], off
	global_load_b64 v[38:39], v[22:23], off
	;; [unrolled: 1-line block ×6, first 2 shown]
	s_wait_xcnt 0x6
	ds_load_b32 v0, v3 offset:128
	s_wait_dscnt 0x0
	v_pk_mul_f32 v[2:3], v[0:1], v[14:15] op_sel_hi:[0,1]
	v_pk_mul_f32 v[12:13], v[0:1], v[12:13] op_sel_hi:[0,1]
	;; [unrolled: 1-line block ×4, first 2 shown]
	s_wait_loadcnt 0x6
	v_pk_fma_f32 v[2:3], v[2:3], v[32:33], v[34:35]
	s_wait_loadcnt 0x4
	v_pk_fma_f32 v[12:13], v[12:13], v[36:37], v[38:39]
	;; [unrolled: 2-line block ×4, first 2 shown]
	s_clause 0x3
	global_store_b64 v[4:5], v[2:3], off
	global_store_b64 v[6:7], v[12:13], off
	;; [unrolled: 1-line block ×4, first 2 shown]
	s_endpgm
	.section	.rodata,"a",@progbits
	.p2align	6, 0x0
	.amdhsa_kernel _Z30addBiasResidualPostLayerNormV2IfLi32EEvPT_PKS0_S3_S3_S3_fi
		.amdhsa_group_segment_fixed_size 136
		.amdhsa_private_segment_fixed_size 0
		.amdhsa_kernarg_size 304
		.amdhsa_user_sgpr_count 2
		.amdhsa_user_sgpr_dispatch_ptr 0
		.amdhsa_user_sgpr_queue_ptr 0
		.amdhsa_user_sgpr_kernarg_segment_ptr 1
		.amdhsa_user_sgpr_dispatch_id 0
		.amdhsa_user_sgpr_kernarg_preload_length 0
		.amdhsa_user_sgpr_kernarg_preload_offset 0
		.amdhsa_user_sgpr_private_segment_size 0
		.amdhsa_wavefront_size32 1
		.amdhsa_uses_dynamic_stack 0
		.amdhsa_enable_private_segment 0
		.amdhsa_system_sgpr_workgroup_id_x 1
		.amdhsa_system_sgpr_workgroup_id_y 0
		.amdhsa_system_sgpr_workgroup_id_z 0
		.amdhsa_system_sgpr_workgroup_info 0
		.amdhsa_system_vgpr_workitem_id 0
		.amdhsa_next_free_vgpr 48
		.amdhsa_next_free_sgpr 16
		.amdhsa_named_barrier_count 0
		.amdhsa_reserve_vcc 1
		.amdhsa_float_round_mode_32 0
		.amdhsa_float_round_mode_16_64 0
		.amdhsa_float_denorm_mode_32 3
		.amdhsa_float_denorm_mode_16_64 3
		.amdhsa_fp16_overflow 0
		.amdhsa_memory_ordered 1
		.amdhsa_forward_progress 1
		.amdhsa_inst_pref_size 15
		.amdhsa_round_robin_scheduling 0
		.amdhsa_exception_fp_ieee_invalid_op 0
		.amdhsa_exception_fp_denorm_src 0
		.amdhsa_exception_fp_ieee_div_zero 0
		.amdhsa_exception_fp_ieee_overflow 0
		.amdhsa_exception_fp_ieee_underflow 0
		.amdhsa_exception_fp_ieee_inexact 0
		.amdhsa_exception_int_div_zero 0
	.end_amdhsa_kernel
	.section	.text._Z30addBiasResidualPostLayerNormV2IfLi32EEvPT_PKS0_S3_S3_S3_fi,"axG",@progbits,_Z30addBiasResidualPostLayerNormV2IfLi32EEvPT_PKS0_S3_S3_S3_fi,comdat
.Lfunc_end1:
	.size	_Z30addBiasResidualPostLayerNormV2IfLi32EEvPT_PKS0_S3_S3_S3_fi, .Lfunc_end1-_Z30addBiasResidualPostLayerNormV2IfLi32EEvPT_PKS0_S3_S3_S3_fi
                                        ; -- End function
	.set _Z30addBiasResidualPostLayerNormV2IfLi32EEvPT_PKS0_S3_S3_S3_fi.num_vgpr, 48
	.set _Z30addBiasResidualPostLayerNormV2IfLi32EEvPT_PKS0_S3_S3_S3_fi.num_agpr, 0
	.set _Z30addBiasResidualPostLayerNormV2IfLi32EEvPT_PKS0_S3_S3_S3_fi.numbered_sgpr, 16
	.set _Z30addBiasResidualPostLayerNormV2IfLi32EEvPT_PKS0_S3_S3_S3_fi.num_named_barrier, 0
	.set _Z30addBiasResidualPostLayerNormV2IfLi32EEvPT_PKS0_S3_S3_S3_fi.private_seg_size, 0
	.set _Z30addBiasResidualPostLayerNormV2IfLi32EEvPT_PKS0_S3_S3_S3_fi.uses_vcc, 1
	.set _Z30addBiasResidualPostLayerNormV2IfLi32EEvPT_PKS0_S3_S3_S3_fi.uses_flat_scratch, 0
	.set _Z30addBiasResidualPostLayerNormV2IfLi32EEvPT_PKS0_S3_S3_S3_fi.has_dyn_sized_stack, 0
	.set _Z30addBiasResidualPostLayerNormV2IfLi32EEvPT_PKS0_S3_S3_S3_fi.has_recursion, 0
	.set _Z30addBiasResidualPostLayerNormV2IfLi32EEvPT_PKS0_S3_S3_S3_fi.has_indirect_call, 0
	.section	.AMDGPU.csdata,"",@progbits
; Kernel info:
; codeLenInByte = 1900
; TotalNumSgprs: 18
; NumVgprs: 48
; ScratchSize: 0
; MemoryBound: 0
; FloatMode: 240
; IeeeMode: 1
; LDSByteSize: 136 bytes/workgroup (compile time only)
; SGPRBlocks: 0
; VGPRBlocks: 2
; NumSGPRsForWavesPerEU: 18
; NumVGPRsForWavesPerEU: 48
; NamedBarCnt: 0
; Occupancy: 16
; WaveLimiterHint : 0
; COMPUTE_PGM_RSRC2:SCRATCH_EN: 0
; COMPUTE_PGM_RSRC2:USER_SGPR: 2
; COMPUTE_PGM_RSRC2:TRAP_HANDLER: 0
; COMPUTE_PGM_RSRC2:TGID_X_EN: 1
; COMPUTE_PGM_RSRC2:TGID_Y_EN: 0
; COMPUTE_PGM_RSRC2:TGID_Z_EN: 0
; COMPUTE_PGM_RSRC2:TIDIG_COMP_CNT: 0
	.section	.text._Z28addBiasResidualPostLayerNormIfLi1ELi64EEvPT_PKS0_S3_S3_S3_fi,"axG",@progbits,_Z28addBiasResidualPostLayerNormIfLi1ELi64EEvPT_PKS0_S3_S3_S3_fi,comdat
	.protected	_Z28addBiasResidualPostLayerNormIfLi1ELi64EEvPT_PKS0_S3_S3_S3_fi ; -- Begin function _Z28addBiasResidualPostLayerNormIfLi1ELi64EEvPT_PKS0_S3_S3_S3_fi
	.globl	_Z28addBiasResidualPostLayerNormIfLi1ELi64EEvPT_PKS0_S3_S3_S3_fi
	.p2align	8
	.type	_Z28addBiasResidualPostLayerNormIfLi1ELi64EEvPT_PKS0_S3_S3_S3_fi,@function
_Z28addBiasResidualPostLayerNormIfLi1ELi64EEvPT_PKS0_S3_S3_S3_fi: ; @_Z28addBiasResidualPostLayerNormIfLi1ELi64EEvPT_PKS0_S3_S3_S3_fi
; %bb.0:
	s_clause 0x1
	s_load_b64 s[8:9], s[0:1], 0x28
	s_load_b64 s[6:7], s[0:1], 0x0
	v_mov_b32_e32 v4, 0
	s_getreg_b32 s10, hwreg(HW_REG_IB_STS2, 6, 4)
                                        ; implicit-def: $vgpr1
	s_wait_kmcnt 0x0
	v_cmp_gt_i32_e64 s2, s9, v0
	s_and_saveexec_b32 s3, s2
	s_cbranch_execz .LBB2_2
; %bb.1:
	s_bfe_u32 s4, ttmp6, 0x4000c
	s_load_b128 s[12:15], s[0:1], 0x8
	s_add_co_i32 s4, s4, 1
	s_and_b32 s5, ttmp6, 15
	s_mul_i32 s4, ttmp9, s4
	s_delay_alu instid0(SALU_CYCLE_1) | instskip(SKIP_2) | instid1(SALU_CYCLE_1)
	s_add_co_i32 s5, s5, s4
	s_cmp_eq_u32 s10, 0
	s_cselect_b32 s4, ttmp9, s5
	v_mad_u32 v1, s9, s4, v0
	global_load_b32 v2, v1, s[6:7] scale_offset
	s_wait_kmcnt 0x0
	global_load_b32 v3, v1, s[12:13] scale_offset
	global_load_b32 v4, v0, s[14:15] scale_offset
	s_wait_loadcnt 0x1
	s_wait_xcnt 0x1
	v_add_f32_e32 v1, v2, v3
	s_wait_loadcnt 0x0
	s_delay_alu instid0(VALU_DEP_1) | instskip(NEXT) | instid1(VALU_DEP_1)
	v_add_f32_e32 v1, v1, v4
	v_add_f32_e32 v4, 0, v1
.LBB2_2:
	s_or_b32 exec_lo, exec_lo, s3
	v_mbcnt_lo_u32_b32 v7, -1, 0
	s_delay_alu instid0(VALU_DEP_1) | instskip(SKIP_2) | instid1(VALU_DEP_3)
	v_or_b32_e32 v2, 32, v7
	v_xor_b32_e32 v3, 16, v7
	v_xor_b32_e32 v10, 1, v7
	v_cmp_gt_i32_e32 vcc_lo, 64, v2
	v_cndmask_b32_e32 v2, v7, v2, vcc_lo
	s_delay_alu instid0(VALU_DEP_4) | instskip(NEXT) | instid1(VALU_DEP_2)
	v_cmp_gt_i32_e32 vcc_lo, 64, v3
	v_dual_cndmask_b32 v3, v7, v3 :: v_dual_lshlrev_b32 v2, 2, v2
	ds_bpermute_b32 v5, v2, v4
	s_wait_dscnt 0x0
	v_dual_add_f32 v5, v4, v5 :: v_dual_bitop2_b32 v4, 8, v7 bitop3:0x14
	s_delay_alu instid0(VALU_DEP_1)
	v_cmp_gt_i32_e32 vcc_lo, 64, v4
	v_dual_cndmask_b32 v4, v7, v4 :: v_dual_lshlrev_b32 v3, 2, v3
	ds_bpermute_b32 v6, v3, v5
	s_wait_dscnt 0x0
	v_dual_lshlrev_b32 v4, 2, v4 :: v_dual_add_f32 v6, v5, v6
	v_xor_b32_e32 v5, 4, v7
	ds_bpermute_b32 v8, v4, v6
	v_cmp_gt_i32_e32 vcc_lo, 64, v5
	s_wait_dscnt 0x0
	v_dual_cndmask_b32 v5, v7, v5 :: v_dual_add_f32 v8, v6, v8
	s_delay_alu instid0(VALU_DEP_1)
	v_dual_lshlrev_b32 v5, 2, v5 :: v_dual_bitop2_b32 v6, 2, v7 bitop3:0x14
	ds_bpermute_b32 v9, v5, v8
	v_cmp_gt_i32_e32 vcc_lo, 64, v6
	v_cndmask_b32_e32 v6, v7, v6, vcc_lo
	v_cmp_gt_i32_e32 vcc_lo, 64, v10
	s_wait_dscnt 0x0
	s_delay_alu instid0(VALU_DEP_2) | instskip(SKIP_3) | instid1(VALU_DEP_1)
	v_dual_add_f32 v8, v8, v9 :: v_dual_lshlrev_b32 v6, 2, v6
	ds_bpermute_b32 v9, v6, v8
	s_wait_dscnt 0x0
	v_dual_cndmask_b32 v7, v7, v10 :: v_dual_add_f32 v10, v8, v9
	v_dual_lshlrev_b32 v7, 2, v7 :: v_dual_bitop2_b32 v9, 63, v0 bitop3:0x40
	v_lshrrev_b32_e32 v8, 4, v0
	ds_bpermute_b32 v11, v7, v10
	v_cmp_eq_u32_e64 s3, 0, v9
	s_and_saveexec_b32 s4, s3
	s_cbranch_execz .LBB2_4
; %bb.3:
	s_wait_dscnt 0x0
	v_add_f32_e32 v10, v10, v11
	ds_store_b32 v8, v10
.LBB2_4:
	s_or_b32 exec_lo, exec_lo, s4
	s_wait_dscnt 0x0
	s_barrier_signal -1
	s_barrier_wait -1
	s_load_b32 s4, s[0:1], 0x3c
	v_dual_mov_b32 v10, 0 :: v_dual_lshlrev_b32 v9, 2, v9
	s_wait_kmcnt 0x0
	s_bfe_u32 s4, s4, 0xa0006
	s_delay_alu instid0(SALU_CYCLE_1)
	v_cmp_gt_u32_e64 s4, s4, v0
	s_and_saveexec_b32 s5, s4
; %bb.5:
	ds_load_b32 v10, v9
; %bb.6:
	s_or_b32 exec_lo, exec_lo, s5
	s_wait_dscnt 0x0
	ds_bpermute_b32 v11, v2, v10
	v_cmp_eq_u32_e64 s5, 0, v0
	s_cvt_f32_i32 s11, s9
	s_wait_dscnt 0x0
	v_add_f32_e32 v10, v10, v11
	ds_bpermute_b32 v11, v3, v10
	s_wait_dscnt 0x0
	v_add_f32_e32 v10, v10, v11
	ds_bpermute_b32 v11, v4, v10
	;; [unrolled: 3-line block ×5, first 2 shown]
	s_and_saveexec_b32 s12, s5
	s_cbranch_execz .LBB2_8
; %bb.7:
	s_wait_dscnt 0x0
	v_add_f32_e32 v10, v10, v11
	s_delay_alu instid0(VALU_DEP_1) | instskip(NEXT) | instid1(VALU_DEP_1)
	v_div_scale_f32 v11, null, s11, s11, v10
	v_rcp_f32_e32 v12, v11
	v_nop
	s_delay_alu instid0(TRANS32_DEP_1) | instskip(NEXT) | instid1(VALU_DEP_1)
	v_fma_f32 v13, -v11, v12, 1.0
	v_fmac_f32_e32 v12, v13, v12
	v_div_scale_f32 v14, vcc_lo, v10, s11, v10
	s_delay_alu instid0(VALU_DEP_1) | instskip(NEXT) | instid1(VALU_DEP_1)
	v_mul_f32_e32 v13, v14, v12
	v_fma_f32 v15, -v11, v13, v14
	s_delay_alu instid0(VALU_DEP_1) | instskip(NEXT) | instid1(VALU_DEP_1)
	v_fmac_f32_e32 v13, v15, v12
	v_fma_f32 v11, -v11, v13, v14
	s_delay_alu instid0(VALU_DEP_1) | instskip(NEXT) | instid1(VALU_DEP_1)
	v_div_fmas_f32 v11, v11, v12, v13
	v_div_fixup_f32 v10, v11, s11, v10
	v_mov_b32_e32 v11, 0
	ds_store_b32 v11, v10 offset:68
.LBB2_8:
	s_or_b32 exec_lo, exec_lo, s12
	v_mov_b32_e32 v10, 0
	s_wait_dscnt 0x0
	s_barrier_signal -1
	s_barrier_wait -1
	ds_load_b32 v11, v10 offset:68
	s_wait_dscnt 0x0
	v_sub_f32_e32 v11, v1, v11
	s_delay_alu instid0(VALU_DEP_1) | instskip(NEXT) | instid1(VALU_DEP_1)
	v_mul_f32_e32 v11, v11, v11
	v_cndmask_b32_e64 v11, 0, v11, s2
	ds_bpermute_b32 v12, v2, v11
	s_wait_dscnt 0x0
	v_add_f32_e32 v11, v11, v12
	ds_bpermute_b32 v12, v3, v11
	s_wait_dscnt 0x0
	v_add_f32_e32 v11, v11, v12
	;; [unrolled: 3-line block ×5, first 2 shown]
	ds_bpermute_b32 v12, v7, v11
	s_and_saveexec_b32 s12, s3
	s_cbranch_execz .LBB2_10
; %bb.9:
	s_wait_dscnt 0x0
	v_add_f32_e32 v11, v11, v12
	ds_store_b32 v8, v11
.LBB2_10:
	s_or_b32 exec_lo, exec_lo, s12
	s_wait_dscnt 0x0
	s_barrier_signal -1
	s_barrier_wait -1
	s_and_saveexec_b32 s3, s4
; %bb.11:
	ds_load_b32 v10, v9
; %bb.12:
	s_or_b32 exec_lo, exec_lo, s3
	s_wait_dscnt 0x0
	ds_bpermute_b32 v2, v2, v10
	s_wait_dscnt 0x0
	v_add_f32_e32 v2, v10, v2
	ds_bpermute_b32 v3, v3, v2
	s_wait_dscnt 0x0
	v_add_f32_e32 v2, v2, v3
	;; [unrolled: 3-line block ×5, first 2 shown]
	ds_bpermute_b32 v3, v7, v2
	s_and_saveexec_b32 s3, s5
	s_cbranch_execz .LBB2_14
; %bb.13:
	s_wait_dscnt 0x0
	v_add_f32_e32 v2, v2, v3
	s_delay_alu instid0(VALU_DEP_1) | instskip(NEXT) | instid1(VALU_DEP_1)
	v_div_scale_f32 v3, null, s11, s11, v2
	v_rcp_f32_e32 v4, v3
	v_nop
	s_delay_alu instid0(TRANS32_DEP_1) | instskip(NEXT) | instid1(VALU_DEP_1)
	v_fma_f32 v5, -v3, v4, 1.0
	v_fmac_f32_e32 v4, v5, v4
	v_div_scale_f32 v6, vcc_lo, v2, s11, v2
	s_delay_alu instid0(VALU_DEP_1) | instskip(NEXT) | instid1(VALU_DEP_1)
	v_mul_f32_e32 v5, v6, v4
	v_fma_f32 v7, -v3, v5, v6
	s_delay_alu instid0(VALU_DEP_1) | instskip(NEXT) | instid1(VALU_DEP_1)
	v_fmac_f32_e32 v5, v7, v4
	v_fma_f32 v3, -v3, v5, v6
	s_delay_alu instid0(VALU_DEP_1) | instskip(NEXT) | instid1(VALU_DEP_1)
	v_div_fmas_f32 v3, v3, v4, v5
	v_div_fixup_f32 v2, v3, s11, v2
	s_delay_alu instid0(VALU_DEP_1)
	v_dual_mov_b32 v3, 0 :: v_dual_add_f32 v2, s8, v2
	ds_store_b32 v3, v2 offset:64
.LBB2_14:
	s_or_b32 exec_lo, exec_lo, s3
	s_wait_dscnt 0x0
	s_barrier_signal -1
	s_barrier_wait -1
	s_and_saveexec_b32 s3, s2
	s_cbranch_execz .LBB2_16
; %bb.15:
	s_load_b128 s[12:15], s[0:1], 0x18
	v_mov_b32_e32 v2, 0
	s_wait_kmcnt 0x0
	s_clause 0x1
	global_load_b32 v4, v0, s[12:13] scale_offset
	global_load_b32 v5, v0, s[14:15] scale_offset
	ds_load_b64 v[2:3], v2 offset:64
	s_wait_dscnt 0x0
	v_readfirstlane_b32 s0, v2
	v_sub_f32_e32 v1, v1, v3
	s_cmp_lt_f32 s0, 0x800000
	s_mul_f32 s1, s0, 0x4b800000
	s_delay_alu instid0(SALU_CYCLE_3) | instskip(NEXT) | instid1(SALU_CYCLE_1)
	s_cselect_b32 s0, s1, s0
	v_s_rsq_f32 s0, s0
	s_delay_alu instid0(TRANS32_DEP_1) | instskip(NEXT) | instid1(SALU_CYCLE_3)
	s_mul_f32 s1, s0, 0x45800000
	s_cselect_b32 s0, s1, s0
	s_bfe_u32 s1, ttmp6, 0x4000c
	s_and_b32 s2, ttmp6, 15
	s_add_co_i32 s1, s1, 1
	v_nop
	v_mul_f32_e32 v1, s0, v1
	s_mul_i32 s1, ttmp9, s1
	s_delay_alu instid0(SALU_CYCLE_1)
	s_add_co_i32 s2, s2, s1
	s_cmp_eq_u32 s10, 0
	s_cselect_b32 s1, ttmp9, s2
	s_wait_xcnt 0x0
	v_mad_u32 v0, s9, s1, v0
	s_wait_loadcnt 0x0
	v_fmac_f32_e32 v5, v4, v1
	global_store_b32 v0, v5, s[6:7] scale_offset
.LBB2_16:
	s_endpgm
	.section	.rodata,"a",@progbits
	.p2align	6, 0x0
	.amdhsa_kernel _Z28addBiasResidualPostLayerNormIfLi1ELi64EEvPT_PKS0_S3_S3_S3_fi
		.amdhsa_group_segment_fixed_size 72
		.amdhsa_private_segment_fixed_size 0
		.amdhsa_kernarg_size 304
		.amdhsa_user_sgpr_count 2
		.amdhsa_user_sgpr_dispatch_ptr 0
		.amdhsa_user_sgpr_queue_ptr 0
		.amdhsa_user_sgpr_kernarg_segment_ptr 1
		.amdhsa_user_sgpr_dispatch_id 0
		.amdhsa_user_sgpr_kernarg_preload_length 0
		.amdhsa_user_sgpr_kernarg_preload_offset 0
		.amdhsa_user_sgpr_private_segment_size 0
		.amdhsa_wavefront_size32 1
		.amdhsa_uses_dynamic_stack 0
		.amdhsa_enable_private_segment 0
		.amdhsa_system_sgpr_workgroup_id_x 1
		.amdhsa_system_sgpr_workgroup_id_y 0
		.amdhsa_system_sgpr_workgroup_id_z 0
		.amdhsa_system_sgpr_workgroup_info 0
		.amdhsa_system_vgpr_workitem_id 0
		.amdhsa_next_free_vgpr 16
		.amdhsa_next_free_sgpr 16
		.amdhsa_named_barrier_count 0
		.amdhsa_reserve_vcc 1
		.amdhsa_float_round_mode_32 0
		.amdhsa_float_round_mode_16_64 0
		.amdhsa_float_denorm_mode_32 3
		.amdhsa_float_denorm_mode_16_64 3
		.amdhsa_fp16_overflow 0
		.amdhsa_memory_ordered 1
		.amdhsa_forward_progress 1
		.amdhsa_inst_pref_size 11
		.amdhsa_round_robin_scheduling 0
		.amdhsa_exception_fp_ieee_invalid_op 0
		.amdhsa_exception_fp_denorm_src 0
		.amdhsa_exception_fp_ieee_div_zero 0
		.amdhsa_exception_fp_ieee_overflow 0
		.amdhsa_exception_fp_ieee_underflow 0
		.amdhsa_exception_fp_ieee_inexact 0
		.amdhsa_exception_int_div_zero 0
	.end_amdhsa_kernel
	.section	.text._Z28addBiasResidualPostLayerNormIfLi1ELi64EEvPT_PKS0_S3_S3_S3_fi,"axG",@progbits,_Z28addBiasResidualPostLayerNormIfLi1ELi64EEvPT_PKS0_S3_S3_S3_fi,comdat
.Lfunc_end2:
	.size	_Z28addBiasResidualPostLayerNormIfLi1ELi64EEvPT_PKS0_S3_S3_S3_fi, .Lfunc_end2-_Z28addBiasResidualPostLayerNormIfLi1ELi64EEvPT_PKS0_S3_S3_S3_fi
                                        ; -- End function
	.set _Z28addBiasResidualPostLayerNormIfLi1ELi64EEvPT_PKS0_S3_S3_S3_fi.num_vgpr, 16
	.set _Z28addBiasResidualPostLayerNormIfLi1ELi64EEvPT_PKS0_S3_S3_S3_fi.num_agpr, 0
	.set _Z28addBiasResidualPostLayerNormIfLi1ELi64EEvPT_PKS0_S3_S3_S3_fi.numbered_sgpr, 16
	.set _Z28addBiasResidualPostLayerNormIfLi1ELi64EEvPT_PKS0_S3_S3_S3_fi.num_named_barrier, 0
	.set _Z28addBiasResidualPostLayerNormIfLi1ELi64EEvPT_PKS0_S3_S3_S3_fi.private_seg_size, 0
	.set _Z28addBiasResidualPostLayerNormIfLi1ELi64EEvPT_PKS0_S3_S3_S3_fi.uses_vcc, 1
	.set _Z28addBiasResidualPostLayerNormIfLi1ELi64EEvPT_PKS0_S3_S3_S3_fi.uses_flat_scratch, 0
	.set _Z28addBiasResidualPostLayerNormIfLi1ELi64EEvPT_PKS0_S3_S3_S3_fi.has_dyn_sized_stack, 0
	.set _Z28addBiasResidualPostLayerNormIfLi1ELi64EEvPT_PKS0_S3_S3_S3_fi.has_recursion, 0
	.set _Z28addBiasResidualPostLayerNormIfLi1ELi64EEvPT_PKS0_S3_S3_S3_fi.has_indirect_call, 0
	.section	.AMDGPU.csdata,"",@progbits
; Kernel info:
; codeLenInByte = 1380
; TotalNumSgprs: 18
; NumVgprs: 16
; ScratchSize: 0
; MemoryBound: 0
; FloatMode: 240
; IeeeMode: 1
; LDSByteSize: 72 bytes/workgroup (compile time only)
; SGPRBlocks: 0
; VGPRBlocks: 0
; NumSGPRsForWavesPerEU: 18
; NumVGPRsForWavesPerEU: 16
; NamedBarCnt: 0
; Occupancy: 16
; WaveLimiterHint : 0
; COMPUTE_PGM_RSRC2:SCRATCH_EN: 0
; COMPUTE_PGM_RSRC2:USER_SGPR: 2
; COMPUTE_PGM_RSRC2:TRAP_HANDLER: 0
; COMPUTE_PGM_RSRC2:TGID_X_EN: 1
; COMPUTE_PGM_RSRC2:TGID_Y_EN: 0
; COMPUTE_PGM_RSRC2:TGID_Z_EN: 0
; COMPUTE_PGM_RSRC2:TIDIG_COMP_CNT: 0
	.section	.text._Z28addBiasResidualPostLayerNormIfLi2ELi64EEvPT_PKS0_S3_S3_S3_fi,"axG",@progbits,_Z28addBiasResidualPostLayerNormIfLi2ELi64EEvPT_PKS0_S3_S3_S3_fi,comdat
	.protected	_Z28addBiasResidualPostLayerNormIfLi2ELi64EEvPT_PKS0_S3_S3_S3_fi ; -- Begin function _Z28addBiasResidualPostLayerNormIfLi2ELi64EEvPT_PKS0_S3_S3_S3_fi
	.globl	_Z28addBiasResidualPostLayerNormIfLi2ELi64EEvPT_PKS0_S3_S3_S3_fi
	.p2align	8
	.type	_Z28addBiasResidualPostLayerNormIfLi2ELi64EEvPT_PKS0_S3_S3_S3_fi,@function
_Z28addBiasResidualPostLayerNormIfLi2ELi64EEvPT_PKS0_S3_S3_S3_fi: ; @_Z28addBiasResidualPostLayerNormIfLi2ELi64EEvPT_PKS0_S3_S3_S3_fi
; %bb.0:
	s_clause 0x1
	s_load_b64 s[10:11], s[0:1], 0x28
	s_load_b64 s[8:9], s[0:1], 0x0
	v_dual_mov_b32 v5, 0 :: v_dual_mov_b32 v4, 0
	v_mov_b32_e32 v3, 0
	s_getreg_b32 s14, hwreg(HW_REG_IB_STS2, 6, 4)
	s_wait_kmcnt 0x0
	v_cmp_gt_i32_e64 s2, s11, v0
	s_and_saveexec_b32 s3, s2
	s_cbranch_execz .LBB3_4
; %bb.1:
	s_load_b128 s[4:7], s[0:1], 0x8
	s_bfe_u32 s12, ttmp6, 0x4000c
	s_and_b32 s13, ttmp6, 15
	s_add_co_i32 s12, s12, 1
	s_mov_b32 s15, exec_lo
	s_mul_i32 s12, ttmp9, s12
	s_delay_alu instid0(SALU_CYCLE_1) | instskip(SKIP_4) | instid1(SALU_CYCLE_1)
	s_add_co_i32 s13, s13, s12
	s_cmp_eq_u32 s14, 0
	s_cselect_b32 s12, ttmp9, s13
	s_load_b32 s13, s[0:1], 0x3c
	s_mul_i32 s12, s11, s12
	v_add_nc_u32_e32 v1, s12, v0
	global_load_b32 v2, v1, s[8:9] scale_offset
	s_wait_kmcnt 0x0
	global_load_b32 v3, v1, s[4:5] scale_offset
	global_load_b32 v4, v0, s[6:7] scale_offset
	s_and_b32 s16, s13, 0xffff
	s_mov_b32 s13, 0
	s_wait_loadcnt 0x1
	s_wait_xcnt 0x1
	v_dual_add_f32 v1, v2, v3 :: v_dual_mov_b32 v3, 0
	s_wait_loadcnt 0x0
	s_delay_alu instid0(VALU_DEP_1) | instskip(SKIP_1) | instid1(VALU_DEP_2)
	v_add_f32_e32 v4, v1, v4
	v_add_nc_u32_e32 v1, s16, v0
	v_add_f32_e32 v5, 0, v4
	s_delay_alu instid0(VALU_DEP_2)
	v_cmpx_gt_u32_e64 s11, v1
	s_cbranch_execz .LBB3_3
; %bb.2:
	v_dual_lshlrev_b32 v2, 2, v0 :: v_dual_add_nc_u32 v1, s12, v1
	s_lshl_b32 s12, s16, 2
	s_delay_alu instid0(VALU_DEP_1) | instskip(NEXT) | instid1(VALU_DEP_1)
	v_add_nc_u64_e32 v[2:3], s[6:7], v[2:3]
	v_add_nc_u64_e32 v[2:3], s[12:13], v[2:3]
	s_clause 0x1
	global_load_b32 v6, v1, s[8:9] scale_offset
	global_load_b32 v7, v1, s[4:5] scale_offset
	global_load_b32 v8, v[2:3], off
	s_wait_loadcnt 0x1
	s_wait_xcnt 0x1
	v_add_f32_e32 v1, v6, v7
	s_wait_loadcnt 0x0
	s_delay_alu instid0(VALU_DEP_1) | instskip(NEXT) | instid1(VALU_DEP_1)
	v_add_f32_e32 v3, v1, v8
	v_add_f32_e32 v5, v5, v3
.LBB3_3:
	s_or_b32 exec_lo, exec_lo, s15
.LBB3_4:
	s_delay_alu instid0(SALU_CYCLE_1) | instskip(SKIP_1) | instid1(VALU_DEP_1)
	s_or_b32 exec_lo, exec_lo, s3
	v_mbcnt_lo_u32_b32 v2, -1, 0
	v_or_b32_e32 v1, 32, v2
	v_xor_b32_e32 v6, 16, v2
	v_xor_b32_e32 v11, 1, v2
	s_delay_alu instid0(VALU_DEP_3) | instskip(SKIP_1) | instid1(VALU_DEP_4)
	v_cmp_gt_i32_e32 vcc_lo, 64, v1
	v_cndmask_b32_e32 v1, v2, v1, vcc_lo
	v_cmp_gt_i32_e32 vcc_lo, 64, v6
	s_delay_alu instid0(VALU_DEP_2) | instskip(SKIP_3) | instid1(VALU_DEP_1)
	v_dual_cndmask_b32 v6, v2, v6 :: v_dual_lshlrev_b32 v1, 2, v1
	ds_bpermute_b32 v7, v1, v5
	s_wait_dscnt 0x0
	v_dual_add_f32 v5, v5, v7 :: v_dual_bitop2_b32 v7, 8, v2 bitop3:0x14
	v_cmp_gt_i32_e32 vcc_lo, 64, v7
	v_dual_cndmask_b32 v7, v2, v7 :: v_dual_lshlrev_b32 v6, 2, v6
	ds_bpermute_b32 v8, v6, v5
	s_wait_dscnt 0x0
	v_dual_lshlrev_b32 v7, 2, v7 :: v_dual_add_f32 v5, v5, v8
	v_xor_b32_e32 v8, 4, v2
	ds_bpermute_b32 v9, v7, v5
	v_cmp_gt_i32_e32 vcc_lo, 64, v8
	s_wait_dscnt 0x0
	v_dual_cndmask_b32 v8, v2, v8 :: v_dual_add_f32 v5, v5, v9
	s_delay_alu instid0(VALU_DEP_1)
	v_dual_lshlrev_b32 v8, 2, v8 :: v_dual_bitop2_b32 v9, 2, v2 bitop3:0x14
	ds_bpermute_b32 v10, v8, v5
	v_cmp_gt_i32_e32 vcc_lo, 64, v9
	v_cndmask_b32_e32 v9, v2, v9, vcc_lo
	v_cmp_gt_i32_e32 vcc_lo, 64, v11
	s_wait_dscnt 0x0
	s_delay_alu instid0(VALU_DEP_2) | instskip(SKIP_4) | instid1(VALU_DEP_2)
	v_dual_add_f32 v5, v5, v10 :: v_dual_lshlrev_b32 v9, 2, v9
	ds_bpermute_b32 v10, v9, v5
	v_dual_cndmask_b32 v2, v2, v11 :: v_dual_lshrrev_b32 v11, 4, v0
	s_wait_dscnt 0x0
	v_add_f32_e32 v5, v5, v10
	v_dual_lshlrev_b32 v10, 2, v2 :: v_dual_bitop2_b32 v2, 63, v0 bitop3:0x40
	ds_bpermute_b32 v12, v10, v5
	v_cmp_eq_u32_e64 s3, 0, v2
	s_and_saveexec_b32 s4, s3
	s_cbranch_execz .LBB3_6
; %bb.5:
	s_wait_dscnt 0x0
	v_add_f32_e32 v5, v5, v12
	ds_store_b32 v11, v5
.LBB3_6:
	s_or_b32 exec_lo, exec_lo, s4
	s_wait_dscnt 0x0
	s_barrier_signal -1
	s_barrier_wait -1
	s_load_b32 s7, s[0:1], 0x3c
	v_dual_mov_b32 v5, 0 :: v_dual_lshlrev_b32 v12, 2, v2
	s_wait_kmcnt 0x0
	s_bfe_u32 s4, s7, 0xa0006
	s_delay_alu instid0(SALU_CYCLE_1)
	v_cmp_gt_u32_e64 s4, s4, v0
	s_and_saveexec_b32 s5, s4
; %bb.7:
	ds_load_b32 v5, v12
; %bb.8:
	s_or_b32 exec_lo, exec_lo, s5
	s_wait_dscnt 0x0
	ds_bpermute_b32 v2, v1, v5
	v_cmp_eq_u32_e64 s5, 0, v0
	s_cvt_f32_i32 s6, s11
	s_wait_dscnt 0x0
	v_add_f32_e32 v2, v5, v2
	ds_bpermute_b32 v5, v6, v2
	s_wait_dscnt 0x0
	v_add_f32_e32 v2, v2, v5
	ds_bpermute_b32 v5, v7, v2
	;; [unrolled: 3-line block ×5, first 2 shown]
	s_and_saveexec_b32 s12, s5
	s_cbranch_execz .LBB3_10
; %bb.9:
	s_wait_dscnt 0x0
	v_add_f32_e32 v2, v2, v5
	s_delay_alu instid0(VALU_DEP_1) | instskip(SKIP_1) | instid1(VALU_DEP_2)
	v_div_scale_f32 v5, null, s6, s6, v2
	v_div_scale_f32 v15, vcc_lo, v2, s6, v2
	v_rcp_f32_e32 v13, v5
	v_nop
	s_delay_alu instid0(TRANS32_DEP_1) | instskip(NEXT) | instid1(VALU_DEP_1)
	v_fma_f32 v14, -v5, v13, 1.0
	v_fmac_f32_e32 v13, v14, v13
	s_delay_alu instid0(VALU_DEP_1) | instskip(NEXT) | instid1(VALU_DEP_1)
	v_mul_f32_e32 v14, v15, v13
	v_fma_f32 v16, -v5, v14, v15
	s_delay_alu instid0(VALU_DEP_1) | instskip(NEXT) | instid1(VALU_DEP_1)
	v_fmac_f32_e32 v14, v16, v13
	v_fma_f32 v5, -v5, v14, v15
	s_delay_alu instid0(VALU_DEP_1) | instskip(NEXT) | instid1(VALU_DEP_1)
	v_div_fmas_f32 v5, v5, v13, v14
	v_div_fixup_f32 v2, v5, s6, v2
	v_mov_b32_e32 v5, 0
	ds_store_b32 v5, v2 offset:68
.LBB3_10:
	s_or_b32 exec_lo, exec_lo, s12
	s_and_b32 s12, 0xffff, s7
	s_wait_dscnt 0x0
	v_dual_mov_b32 v5, 0 :: v_dual_add_nc_u32 v2, s12, v0
	s_barrier_signal -1
	s_barrier_wait -1
	s_and_saveexec_b32 s7, s2
	s_cbranch_execz .LBB3_12
; %bb.11:
	v_mov_b32_e32 v5, 0
	v_cmp_gt_u32_e32 vcc_lo, s11, v2
	ds_load_b32 v14, v5 offset:68
	v_mov_b32_e32 v5, v3
	s_wait_dscnt 0x0
	s_delay_alu instid0(VALU_DEP_1) | instskip(NEXT) | instid1(VALU_DEP_1)
	v_pk_add_f32 v[14:15], v[4:5], v[14:15] op_sel_hi:[1,0] neg_lo:[0,1] neg_hi:[0,1]
	v_pk_mul_f32 v[14:15], v[14:15], v[14:15]
	s_delay_alu instid0(VALU_DEP_1) | instskip(NEXT) | instid1(VALU_DEP_1)
	v_add_f32_e32 v5, v14, v15
	v_cndmask_b32_e32 v5, v14, v5, vcc_lo
.LBB3_12:
	s_or_b32 exec_lo, exec_lo, s7
	ds_bpermute_b32 v13, v1, v5
	s_wait_dscnt 0x0
	v_add_f32_e32 v5, v5, v13
	ds_bpermute_b32 v13, v6, v5
	s_wait_dscnt 0x0
	v_add_f32_e32 v5, v5, v13
	;; [unrolled: 3-line block ×5, first 2 shown]
	ds_bpermute_b32 v13, v10, v5
	s_and_saveexec_b32 s7, s3
	s_cbranch_execz .LBB3_14
; %bb.13:
	s_wait_dscnt 0x0
	v_add_f32_e32 v5, v5, v13
	ds_store_b32 v11, v5
.LBB3_14:
	s_or_b32 exec_lo, exec_lo, s7
	v_mov_b32_e32 v5, 0
	s_wait_dscnt 0x0
	s_barrier_signal -1
	s_barrier_wait -1
	s_and_saveexec_b32 s3, s4
; %bb.15:
	ds_load_b32 v5, v12
; %bb.16:
	s_or_b32 exec_lo, exec_lo, s3
	s_wait_dscnt 0x0
	ds_bpermute_b32 v1, v1, v5
	s_wait_dscnt 0x0
	v_add_f32_e32 v1, v5, v1
	ds_bpermute_b32 v5, v6, v1
	s_wait_dscnt 0x0
	v_add_f32_e32 v1, v1, v5
	;; [unrolled: 3-line block ×5, first 2 shown]
	ds_bpermute_b32 v5, v10, v1
	s_and_saveexec_b32 s3, s5
	s_cbranch_execz .LBB3_18
; %bb.17:
	s_wait_dscnt 0x0
	v_add_f32_e32 v1, v1, v5
	s_delay_alu instid0(VALU_DEP_1) | instskip(NEXT) | instid1(VALU_DEP_1)
	v_div_scale_f32 v5, null, s6, s6, v1
	v_rcp_f32_e32 v6, v5
	v_nop
	s_delay_alu instid0(TRANS32_DEP_1) | instskip(NEXT) | instid1(VALU_DEP_1)
	v_fma_f32 v7, -v5, v6, 1.0
	v_fmac_f32_e32 v6, v7, v6
	v_div_scale_f32 v8, vcc_lo, v1, s6, v1
	s_delay_alu instid0(VALU_DEP_1) | instskip(NEXT) | instid1(VALU_DEP_1)
	v_mul_f32_e32 v7, v8, v6
	v_fma_f32 v9, -v5, v7, v8
	s_delay_alu instid0(VALU_DEP_1) | instskip(NEXT) | instid1(VALU_DEP_1)
	v_fmac_f32_e32 v7, v9, v6
	v_fma_f32 v5, -v5, v7, v8
	s_delay_alu instid0(VALU_DEP_1) | instskip(NEXT) | instid1(VALU_DEP_1)
	v_div_fmas_f32 v5, v5, v6, v7
	v_div_fixup_f32 v1, v5, s6, v1
	s_delay_alu instid0(VALU_DEP_1)
	v_dual_mov_b32 v5, 0 :: v_dual_add_f32 v1, s10, v1
	ds_store_b32 v5, v1 offset:64
.LBB3_18:
	s_or_b32 exec_lo, exec_lo, s3
	s_wait_dscnt 0x0
	s_barrier_signal -1
	s_barrier_wait -1
	s_and_saveexec_b32 s3, s2
	s_cbranch_execz .LBB3_21
; %bb.19:
	s_load_b128 s[4:7], s[0:1], 0x18
	v_mov_b32_e32 v1, 0
	v_cmp_gt_u32_e32 vcc_lo, s11, v2
	s_wait_kmcnt 0x0
	s_clause 0x1
	global_load_b32 v5, v0, s[4:5] scale_offset
	global_load_b32 v8, v0, s[6:7] scale_offset
	ds_load_b64 v[6:7], v1 offset:64
	s_wait_dscnt 0x0
	v_readfirstlane_b32 s0, v6
	v_sub_f32_e32 v4, v4, v7
	s_cmp_lt_f32 s0, 0x800000
	s_mul_f32 s1, s0, 0x4b800000
	s_delay_alu instid0(SALU_CYCLE_3) | instskip(NEXT) | instid1(SALU_CYCLE_1)
	s_cselect_b32 s0, s1, s0
	v_s_rsq_f32 s0, s0
	s_delay_alu instid0(TRANS32_DEP_1) | instskip(NEXT) | instid1(SALU_CYCLE_3)
	s_mul_f32 s1, s0, 0x45800000
	s_cselect_b32 s2, s1, s0
	s_bfe_u32 s0, ttmp6, 0x4000c
	s_and_b32 s1, ttmp6, 15
	s_add_co_i32 s0, s0, 1
	v_mul_f32_e32 v4, s2, v4
	s_mul_i32 s0, ttmp9, s0
	s_delay_alu instid0(SALU_CYCLE_1)
	s_add_co_i32 s1, s1, s0
	s_cmp_eq_u32 s14, 0
	s_cselect_b32 s0, ttmp9, s1
	s_mov_b32 s1, 0
	s_mul_i32 s3, s11, s0
	s_wait_loadcnt 0x0
	v_fmac_f32_e32 v8, v5, v4
	v_add_nc_u32_e32 v4, s3, v0
	global_store_b32 v4, v8, s[8:9] scale_offset
	s_wait_xcnt 0x0
	s_and_b32 exec_lo, exec_lo, vcc_lo
	s_cbranch_execz .LBB3_21
; %bb.20:
	v_lshlrev_b32_e32 v0, 2, v0
	s_lshl_b32 s0, s12, 2
	s_delay_alu instid0(VALU_DEP_1) | instskip(SKIP_1) | instid1(VALU_DEP_2)
	v_add_nc_u64_e32 v[4:5], s[4:5], v[0:1]
	v_add_nc_u64_e32 v[0:1], s[6:7], v[0:1]
	v_add_nc_u64_e32 v[4:5], s[0:1], v[4:5]
	s_delay_alu instid0(VALU_DEP_2) | instskip(SKIP_4) | instid1(VALU_DEP_1)
	v_add_nc_u64_e32 v[0:1], s[0:1], v[0:1]
	global_load_b32 v6, v[4:5], off
	global_load_b32 v8, v[0:1], off
	s_wait_xcnt 0x0
	v_sub_f32_e32 v0, v3, v7
	v_mul_f32_e32 v0, s2, v0
	s_wait_loadcnt 0x0
	s_delay_alu instid0(VALU_DEP_1)
	v_dual_fmac_f32 v8, v6, v0 :: v_dual_add_nc_u32 v0, s3, v2
	global_store_b32 v0, v8, s[8:9] scale_offset
.LBB3_21:
	s_endpgm
	.section	.rodata,"a",@progbits
	.p2align	6, 0x0
	.amdhsa_kernel _Z28addBiasResidualPostLayerNormIfLi2ELi64EEvPT_PKS0_S3_S3_S3_fi
		.amdhsa_group_segment_fixed_size 72
		.amdhsa_private_segment_fixed_size 0
		.amdhsa_kernarg_size 304
		.amdhsa_user_sgpr_count 2
		.amdhsa_user_sgpr_dispatch_ptr 0
		.amdhsa_user_sgpr_queue_ptr 0
		.amdhsa_user_sgpr_kernarg_segment_ptr 1
		.amdhsa_user_sgpr_dispatch_id 0
		.amdhsa_user_sgpr_kernarg_preload_length 0
		.amdhsa_user_sgpr_kernarg_preload_offset 0
		.amdhsa_user_sgpr_private_segment_size 0
		.amdhsa_wavefront_size32 1
		.amdhsa_uses_dynamic_stack 0
		.amdhsa_enable_private_segment 0
		.amdhsa_system_sgpr_workgroup_id_x 1
		.amdhsa_system_sgpr_workgroup_id_y 0
		.amdhsa_system_sgpr_workgroup_id_z 0
		.amdhsa_system_sgpr_workgroup_info 0
		.amdhsa_system_vgpr_workitem_id 0
		.amdhsa_next_free_vgpr 17
		.amdhsa_next_free_sgpr 17
		.amdhsa_named_barrier_count 0
		.amdhsa_reserve_vcc 1
		.amdhsa_float_round_mode_32 0
		.amdhsa_float_round_mode_16_64 0
		.amdhsa_float_denorm_mode_32 3
		.amdhsa_float_denorm_mode_16_64 3
		.amdhsa_fp16_overflow 0
		.amdhsa_memory_ordered 1
		.amdhsa_forward_progress 1
		.amdhsa_inst_pref_size 14
		.amdhsa_round_robin_scheduling 0
		.amdhsa_exception_fp_ieee_invalid_op 0
		.amdhsa_exception_fp_denorm_src 0
		.amdhsa_exception_fp_ieee_div_zero 0
		.amdhsa_exception_fp_ieee_overflow 0
		.amdhsa_exception_fp_ieee_underflow 0
		.amdhsa_exception_fp_ieee_inexact 0
		.amdhsa_exception_int_div_zero 0
	.end_amdhsa_kernel
	.section	.text._Z28addBiasResidualPostLayerNormIfLi2ELi64EEvPT_PKS0_S3_S3_S3_fi,"axG",@progbits,_Z28addBiasResidualPostLayerNormIfLi2ELi64EEvPT_PKS0_S3_S3_S3_fi,comdat
.Lfunc_end3:
	.size	_Z28addBiasResidualPostLayerNormIfLi2ELi64EEvPT_PKS0_S3_S3_S3_fi, .Lfunc_end3-_Z28addBiasResidualPostLayerNormIfLi2ELi64EEvPT_PKS0_S3_S3_S3_fi
                                        ; -- End function
	.set _Z28addBiasResidualPostLayerNormIfLi2ELi64EEvPT_PKS0_S3_S3_S3_fi.num_vgpr, 17
	.set _Z28addBiasResidualPostLayerNormIfLi2ELi64EEvPT_PKS0_S3_S3_S3_fi.num_agpr, 0
	.set _Z28addBiasResidualPostLayerNormIfLi2ELi64EEvPT_PKS0_S3_S3_S3_fi.numbered_sgpr, 17
	.set _Z28addBiasResidualPostLayerNormIfLi2ELi64EEvPT_PKS0_S3_S3_S3_fi.num_named_barrier, 0
	.set _Z28addBiasResidualPostLayerNormIfLi2ELi64EEvPT_PKS0_S3_S3_S3_fi.private_seg_size, 0
	.set _Z28addBiasResidualPostLayerNormIfLi2ELi64EEvPT_PKS0_S3_S3_S3_fi.uses_vcc, 1
	.set _Z28addBiasResidualPostLayerNormIfLi2ELi64EEvPT_PKS0_S3_S3_S3_fi.uses_flat_scratch, 0
	.set _Z28addBiasResidualPostLayerNormIfLi2ELi64EEvPT_PKS0_S3_S3_S3_fi.has_dyn_sized_stack, 0
	.set _Z28addBiasResidualPostLayerNormIfLi2ELi64EEvPT_PKS0_S3_S3_S3_fi.has_recursion, 0
	.set _Z28addBiasResidualPostLayerNormIfLi2ELi64EEvPT_PKS0_S3_S3_S3_fi.has_indirect_call, 0
	.section	.AMDGPU.csdata,"",@progbits
; Kernel info:
; codeLenInByte = 1708
; TotalNumSgprs: 19
; NumVgprs: 17
; ScratchSize: 0
; MemoryBound: 0
; FloatMode: 240
; IeeeMode: 1
; LDSByteSize: 72 bytes/workgroup (compile time only)
; SGPRBlocks: 0
; VGPRBlocks: 1
; NumSGPRsForWavesPerEU: 19
; NumVGPRsForWavesPerEU: 17
; NamedBarCnt: 0
; Occupancy: 16
; WaveLimiterHint : 0
; COMPUTE_PGM_RSRC2:SCRATCH_EN: 0
; COMPUTE_PGM_RSRC2:USER_SGPR: 2
; COMPUTE_PGM_RSRC2:TRAP_HANDLER: 0
; COMPUTE_PGM_RSRC2:TGID_X_EN: 1
; COMPUTE_PGM_RSRC2:TGID_Y_EN: 0
; COMPUTE_PGM_RSRC2:TGID_Z_EN: 0
; COMPUTE_PGM_RSRC2:TIDIG_COMP_CNT: 0
	.section	.text._Z35generalAddBiasResidualPostLayerNormIfLi64EEvPT_PKS0_S3_S3_S3_fi,"axG",@progbits,_Z35generalAddBiasResidualPostLayerNormIfLi64EEvPT_PKS0_S3_S3_S3_fi,comdat
	.protected	_Z35generalAddBiasResidualPostLayerNormIfLi64EEvPT_PKS0_S3_S3_S3_fi ; -- Begin function _Z35generalAddBiasResidualPostLayerNormIfLi64EEvPT_PKS0_S3_S3_S3_fi
	.globl	_Z35generalAddBiasResidualPostLayerNormIfLi64EEvPT_PKS0_S3_S3_S3_fi
	.p2align	8
	.type	_Z35generalAddBiasResidualPostLayerNormIfLi64EEvPT_PKS0_S3_S3_S3_fi,@function
_Z35generalAddBiasResidualPostLayerNormIfLi64EEvPT_PKS0_S3_S3_S3_fi: ; @_Z35generalAddBiasResidualPostLayerNormIfLi64EEvPT_PKS0_S3_S3_S3_fi
; %bb.0:
	s_clause 0x1
	s_load_b64 s[10:11], s[0:1], 0x28
	s_load_b64 s[8:9], s[0:1], 0x0
	v_mov_b32_e32 v3, 0
	s_getreg_b32 s15, hwreg(HW_REG_IB_STS2, 6, 4)
	s_wait_kmcnt 0x0
	s_lshr_b32 s2, s11, 31
	s_delay_alu instid0(SALU_CYCLE_1) | instskip(NEXT) | instid1(SALU_CYCLE_1)
	s_add_co_i32 s2, s11, s2
	s_ashr_i32 s14, s2, 1
	s_delay_alu instid0(SALU_CYCLE_1)
	v_cmp_gt_i32_e64 s2, s14, v0
	s_and_saveexec_b32 s3, s2
	s_cbranch_execz .LBB4_4
; %bb.1:
	s_clause 0x1
	s_load_b128 s[4:7], s[0:1], 0x8
	s_load_b32 s12, s[0:1], 0x3c
	s_bfe_u32 s13, ttmp6, 0x4000c
	v_dual_mov_b32 v3, 0 :: v_dual_lshlrev_b32 v2, 3, v0
	s_add_co_i32 s13, s13, 1
	s_and_b32 s16, ttmp6, 15
	s_mul_i32 s13, ttmp9, s13
	v_mov_b32_e32 v1, v0
	s_add_co_i32 s16, s16, s13
	s_cmp_eq_u32 s15, 0
	s_mov_b32 s13, 0
	s_cselect_b32 s16, ttmp9, s16
	s_delay_alu instid0(SALU_CYCLE_1)
	s_mul_i32 s16, s11, s16
	s_wait_kmcnt 0x0
	v_add_nc_u64_e32 v[4:5], s[6:7], v[2:3]
	s_and_b32 s6, s12, 0xffff
	s_lshr_b32 s7, s16, 1
	s_lshl_b32 s12, s6, 3
	s_mov_b32 s16, s13
.LBB4_2:                                ; =>This Inner Loop Header: Depth=1
	v_dual_add_nc_u32 v2, s7, v1 :: v_dual_add_nc_u32 v1, s6, v1
	s_clause 0x1
	global_load_b64 v[6:7], v2, s[8:9] scale_offset
	global_load_b64 v[8:9], v2, s[4:5] scale_offset
	global_load_b64 v[10:11], v[4:5], off
	v_cmp_le_i32_e32 vcc_lo, s14, v1
	s_wait_xcnt 0x0
	v_add_nc_u64_e32 v[4:5], s[12:13], v[4:5]
	s_or_b32 s16, vcc_lo, s16
	s_wait_loadcnt 0x1
	v_pk_add_f32 v[6:7], v[6:7], v[8:9]
	s_wait_loadcnt 0x0
	s_delay_alu instid0(VALU_DEP_1) | instskip(NEXT) | instid1(VALU_DEP_1)
	v_pk_add_f32 v[6:7], v[6:7], v[10:11]
	v_add_f32_e32 v3, v3, v6
	global_store_b64 v2, v[6:7], s[8:9] scale_offset
	v_add_f32_e32 v3, v3, v7
	s_wait_xcnt 0x0
	s_and_not1_b32 exec_lo, exec_lo, s16
	s_cbranch_execnz .LBB4_2
; %bb.3:
	s_or_b32 exec_lo, exec_lo, s16
.LBB4_4:
	s_delay_alu instid0(SALU_CYCLE_1) | instskip(SKIP_2) | instid1(VALU_DEP_1)
	s_or_b32 exec_lo, exec_lo, s3
	v_mbcnt_lo_u32_b32 v2, -1, 0
	s_load_b128 s[4:7], s[0:1], 0x18
	v_xor_b32_e32 v4, 16, v2
	v_or_b32_e32 v1, 32, v2
	v_xor_b32_e32 v9, 1, v2
	s_delay_alu instid0(VALU_DEP_2) | instskip(SKIP_3) | instid1(VALU_DEP_1)
	v_cmp_gt_i32_e32 vcc_lo, 64, v1
	v_cndmask_b32_e32 v1, v2, v1, vcc_lo
	v_cmp_gt_i32_e32 vcc_lo, 64, v4
	v_cndmask_b32_e32 v4, v2, v4, vcc_lo
	v_dual_lshlrev_b32 v4, 2, v4 :: v_dual_lshlrev_b32 v1, 2, v1
	ds_bpermute_b32 v5, v1, v3
	s_wait_dscnt 0x0
	v_dual_add_f32 v3, v3, v5 :: v_dual_bitop2_b32 v5, 8, v2 bitop3:0x14
	ds_bpermute_b32 v6, v4, v3
	v_cmp_gt_i32_e32 vcc_lo, 64, v5
	s_wait_dscnt 0x0
	v_dual_cndmask_b32 v5, v2, v5, vcc_lo :: v_dual_add_f32 v3, v3, v6
	s_delay_alu instid0(VALU_DEP_1)
	v_dual_lshlrev_b32 v5, 2, v5 :: v_dual_bitop2_b32 v6, 4, v2 bitop3:0x14
	ds_bpermute_b32 v7, v5, v3
	v_cmp_gt_i32_e32 vcc_lo, 64, v6
	s_wait_dscnt 0x0
	v_dual_cndmask_b32 v6, v2, v6 :: v_dual_add_f32 v3, v3, v7
	v_xor_b32_e32 v7, 2, v2
	s_delay_alu instid0(VALU_DEP_1) | instskip(NEXT) | instid1(VALU_DEP_3)
	v_cmp_gt_i32_e32 vcc_lo, 64, v7
	v_dual_cndmask_b32 v7, v2, v7 :: v_dual_lshlrev_b32 v6, 2, v6
	ds_bpermute_b32 v8, v6, v3
	v_cmp_gt_i32_e32 vcc_lo, 64, v9
	s_wait_dscnt 0x0
	v_dual_lshlrev_b32 v7, 2, v7 :: v_dual_add_f32 v3, v3, v8
	ds_bpermute_b32 v8, v7, v3
	v_dual_cndmask_b32 v2, v2, v9 :: v_dual_lshrrev_b32 v9, 4, v0
	s_wait_dscnt 0x0
	s_delay_alu instid0(VALU_DEP_1)
	v_dual_add_f32 v3, v3, v8 :: v_dual_lshlrev_b32 v8, 2, v2
	v_and_b32_e32 v2, 63, v0
	ds_bpermute_b32 v10, v8, v3
	v_cmp_eq_u32_e64 s3, 0, v2
	s_and_saveexec_b32 s12, s3
	s_cbranch_execz .LBB4_6
; %bb.5:
	s_wait_dscnt 0x0
	v_add_f32_e32 v3, v3, v10
	ds_store_b32 v9, v3
.LBB4_6:
	s_or_b32 exec_lo, exec_lo, s12
	s_wait_storecnt_dscnt 0x0
	s_barrier_signal -1
	s_barrier_wait -1
	s_load_b32 s12, s[0:1], 0x3c
	v_dual_mov_b32 v3, 0 :: v_dual_lshlrev_b32 v10, 2, v2
	s_wait_kmcnt 0x0
	s_bfe_u32 s0, s12, 0xa0006
	s_delay_alu instid0(SALU_CYCLE_1)
	v_cmp_gt_u32_e64 s0, s0, v0
	s_and_saveexec_b32 s1, s0
; %bb.7:
	ds_load_b32 v3, v10
; %bb.8:
	s_or_b32 exec_lo, exec_lo, s1
	s_wait_dscnt 0x0
	ds_bpermute_b32 v2, v1, v3
	v_cmp_eq_u32_e64 s1, 0, v0
	s_cvt_f32_i32 s13, s11
	s_wait_dscnt 0x0
	v_add_f32_e32 v2, v3, v2
	ds_bpermute_b32 v3, v4, v2
	s_wait_dscnt 0x0
	v_add_f32_e32 v2, v2, v3
	ds_bpermute_b32 v3, v5, v2
	s_wait_dscnt 0x0
	v_add_f32_e32 v2, v2, v3
	ds_bpermute_b32 v3, v6, v2
	s_wait_dscnt 0x0
	v_add_f32_e32 v2, v2, v3
	ds_bpermute_b32 v3, v7, v2
	s_wait_dscnt 0x0
	v_add_f32_e32 v2, v2, v3
	ds_bpermute_b32 v3, v8, v2
	s_and_saveexec_b32 s16, s1
	s_cbranch_execz .LBB4_10
; %bb.9:
	s_wait_dscnt 0x0
	v_add_f32_e32 v2, v2, v3
	s_delay_alu instid0(VALU_DEP_1) | instskip(SKIP_1) | instid1(VALU_DEP_2)
	v_div_scale_f32 v3, null, s13, s13, v2
	v_div_scale_f32 v13, vcc_lo, v2, s13, v2
	v_rcp_f32_e32 v11, v3
	v_nop
	s_delay_alu instid0(TRANS32_DEP_1) | instskip(NEXT) | instid1(VALU_DEP_1)
	v_fma_f32 v12, -v3, v11, 1.0
	v_fmac_f32_e32 v11, v12, v11
	s_delay_alu instid0(VALU_DEP_1) | instskip(NEXT) | instid1(VALU_DEP_1)
	v_mul_f32_e32 v12, v13, v11
	v_fma_f32 v14, -v3, v12, v13
	s_delay_alu instid0(VALU_DEP_1) | instskip(NEXT) | instid1(VALU_DEP_1)
	v_fmac_f32_e32 v12, v14, v11
	v_fma_f32 v3, -v3, v12, v13
	s_delay_alu instid0(VALU_DEP_1) | instskip(NEXT) | instid1(VALU_DEP_1)
	v_div_fmas_f32 v3, v3, v11, v12
	v_div_fixup_f32 v2, v3, s13, v2
	v_mov_b32_e32 v3, 0
	ds_store_b32 v3, v2 offset:68
.LBB4_10:
	s_or_b32 exec_lo, exec_lo, s16
	s_bfe_u32 s16, ttmp6, 0x4000c
	s_and_b32 s17, ttmp6, 15
	s_add_co_i32 s16, s16, 1
	v_mov_b32_e32 v11, 0
	s_mul_i32 s16, ttmp9, s16
	s_wait_dscnt 0x0
	s_add_co_i32 s17, s17, s16
	s_cmp_eq_u32 s15, 0
	s_barrier_signal -1
	s_cselect_b32 s15, ttmp9, s17
	s_and_b32 s12, 0xffff, s12
	s_mul_i32 s11, s11, s15
	s_barrier_wait -1
	s_and_saveexec_b32 s15, s2
	s_cbranch_execz .LBB4_14
; %bb.11:
	v_dual_mov_b32 v11, 0 :: v_dual_mov_b32 v12, v0
	s_lshr_b32 s17, s11, 1
	s_mov_b32 s16, 0
	ds_load_b32 v2, v11 offset:68
	s_wait_dscnt 0x0
	v_mov_b32_e32 v3, v2
.LBB4_12:                               ; =>This Inner Loop Header: Depth=1
	v_dual_add_nc_u32 v13, s17, v12 :: v_dual_add_nc_u32 v12, s12, v12
	global_load_b64 v[14:15], v13, s[8:9] scale_offset
	v_cmp_le_i32_e32 vcc_lo, s14, v12
	s_or_b32 s16, vcc_lo, s16
	s_wait_loadcnt 0x0
	v_pk_add_f32 v[14:15], v[14:15], v[2:3] neg_lo:[0,1] neg_hi:[0,1]
	s_delay_alu instid0(VALU_DEP_1) | instskip(NEXT) | instid1(VALU_DEP_1)
	v_pk_mul_f32 v[14:15], v[14:15], v[14:15]
	v_add_f32_e32 v11, v11, v14
	s_delay_alu instid0(VALU_DEP_1)
	v_add_f32_e32 v11, v15, v11
	s_and_not1_b32 exec_lo, exec_lo, s16
	s_cbranch_execnz .LBB4_12
; %bb.13:
	s_or_b32 exec_lo, exec_lo, s16
.LBB4_14:
	s_delay_alu instid0(SALU_CYCLE_1)
	s_or_b32 exec_lo, exec_lo, s15
	ds_bpermute_b32 v2, v1, v11
	s_wait_dscnt 0x0
	v_add_f32_e32 v2, v11, v2
	ds_bpermute_b32 v3, v4, v2
	s_wait_dscnt 0x0
	v_add_f32_e32 v2, v2, v3
	;; [unrolled: 3-line block ×5, first 2 shown]
	ds_bpermute_b32 v3, v8, v2
	s_and_saveexec_b32 s15, s3
	s_cbranch_execz .LBB4_16
; %bb.15:
	s_wait_dscnt 0x0
	v_add_f32_e32 v2, v2, v3
	ds_store_b32 v9, v2
.LBB4_16:
	s_or_b32 exec_lo, exec_lo, s15
	v_mov_b32_e32 v2, 0
	s_wait_dscnt 0x0
	s_barrier_signal -1
	s_barrier_wait -1
	s_and_saveexec_b32 s3, s0
; %bb.17:
	ds_load_b32 v2, v10
; %bb.18:
	s_or_b32 exec_lo, exec_lo, s3
	s_wait_dscnt 0x0
	ds_bpermute_b32 v1, v1, v2
	s_wait_dscnt 0x0
	v_add_f32_e32 v1, v2, v1
	ds_bpermute_b32 v2, v4, v1
	s_wait_dscnt 0x0
	v_add_f32_e32 v1, v1, v2
	;; [unrolled: 3-line block ×5, first 2 shown]
	ds_bpermute_b32 v2, v8, v1
	s_and_saveexec_b32 s0, s1
	s_cbranch_execz .LBB4_20
; %bb.19:
	s_wait_dscnt 0x0
	v_add_f32_e32 v1, v1, v2
	s_delay_alu instid0(VALU_DEP_1) | instskip(NEXT) | instid1(VALU_DEP_1)
	v_div_scale_f32 v2, null, s13, s13, v1
	v_rcp_f32_e32 v3, v2
	v_nop
	s_delay_alu instid0(TRANS32_DEP_1) | instskip(NEXT) | instid1(VALU_DEP_1)
	v_fma_f32 v4, -v2, v3, 1.0
	v_fmac_f32_e32 v3, v4, v3
	v_div_scale_f32 v5, vcc_lo, v1, s13, v1
	s_delay_alu instid0(VALU_DEP_1) | instskip(NEXT) | instid1(VALU_DEP_1)
	v_mul_f32_e32 v4, v5, v3
	v_fma_f32 v6, -v2, v4, v5
	s_delay_alu instid0(VALU_DEP_1) | instskip(NEXT) | instid1(VALU_DEP_1)
	v_fmac_f32_e32 v4, v6, v3
	v_fma_f32 v2, -v2, v4, v5
	s_delay_alu instid0(VALU_DEP_1) | instskip(NEXT) | instid1(VALU_DEP_1)
	v_div_fmas_f32 v2, v2, v3, v4
	v_div_fixup_f32 v1, v2, s13, v1
	s_delay_alu instid0(VALU_DEP_1) | instskip(NEXT) | instid1(VALU_DEP_1)
	v_add_f32_e32 v1, s10, v1
	v_mul_f32_e32 v2, 0x4b800000, v1
	v_cmp_gt_f32_e32 vcc_lo, 0x800000, v1
	s_delay_alu instid0(VALU_DEP_2) | instskip(NEXT) | instid1(VALU_DEP_1)
	v_cndmask_b32_e32 v1, v1, v2, vcc_lo
	v_rsq_f32_e32 v1, v1
	v_nop
	s_delay_alu instid0(TRANS32_DEP_1) | instskip(NEXT) | instid1(VALU_DEP_1)
	v_mul_f32_e32 v2, 0x45800000, v1
	v_dual_cndmask_b32 v1, v1, v2 :: v_dual_mov_b32 v2, 0
	ds_store_b32 v2, v1 offset:64
.LBB4_20:
	s_or_b32 exec_lo, exec_lo, s0
	s_wait_dscnt 0x0
	s_barrier_signal -1
	s_barrier_wait -1
	s_and_saveexec_b32 s0, s2
	s_cbranch_execz .LBB4_30
; %bb.21:
	v_mov_b32_e32 v1, 0
	s_lshr_b32 s2, s11, 1
	s_mov_b32 s3, exec_lo
	ds_load_b64 v[2:3], v1 offset:64
	v_add_max_i32_e64 v1, v0, 1, s14
	s_delay_alu instid0(VALU_DEP_1) | instskip(NEXT) | instid1(VALU_DEP_1)
	v_sub_nc_u32_e32 v12, v1, v0
	v_cmp_gt_u32_e64 s1, 6, v12
	v_cmpx_lt_u32_e32 5, v12
	s_cbranch_execz .LBB4_27
; %bb.22:
	s_cvt_f32_u32 s0, s12
	v_add_nc_u32_e32 v4, s12, v0
	s_cmp_eq_u32 s12, 1
	s_cselect_b32 s11, -1, 0
	v_rcp_iflag_f32_e32 v1, s0
	s_delay_alu instid0(VALU_DEP_1) | instskip(SKIP_1) | instid1(TRANS32_DEP_1)
	v_cmp_gt_i32_e32 vcc_lo, s14, v4
	s_sub_co_i32 s10, 0, s12
	v_readfirstlane_b32 s0, v1
	v_max_i32_e32 v1, s14, v4
	v_add_co_ci_u32_e64 v4, null, s12, v0, vcc_lo
	s_mul_f32 s0, s0, 0x4f7ffffe
	v_sub_nc_u32_e32 v1, v1, v4
	s_delay_alu instid0(SALU_CYCLE_2) | instskip(NEXT) | instid1(SALU_CYCLE_3)
	s_cvt_u32_f32 s0, s0
	s_mul_i32 s10, s10, s0
	s_delay_alu instid0(SALU_CYCLE_1) | instskip(NEXT) | instid1(SALU_CYCLE_1)
	s_mul_hi_u32 s10, s0, s10
	s_add_co_i32 s0, s0, s10
	s_mov_b32 s10, 0
	v_mul_hi_u32 v4, v1, s0
	s_delay_alu instid0(VALU_DEP_1) | instskip(NEXT) | instid1(VALU_DEP_1)
	v_mul_lo_u32 v5, v4, s12
	v_dual_sub_nc_u32 v1, v1, v5 :: v_dual_add_nc_u32 v5, 1, v4
	s_delay_alu instid0(VALU_DEP_1) | instskip(SKIP_1) | instid1(VALU_DEP_1)
	v_subrev_nc_u32_e32 v6, s12, v1
	v_cmp_le_u32_e64 s0, s12, v1
	v_dual_cndmask_b32 v4, v4, v5, s0 :: v_dual_cndmask_b32 v1, v1, v6, s0
	s_delay_alu instid0(VALU_DEP_1) | instskip(NEXT) | instid1(VALU_DEP_2)
	v_add_nc_u32_e32 v5, 1, v4
	v_cmp_le_u32_e64 s0, s12, v1
	s_delay_alu instid0(VALU_DEP_1) | instskip(NEXT) | instid1(VALU_DEP_1)
	v_dual_add_nc_u32 v6, s2, v0 :: v_dual_cndmask_b32 v1, v4, v5, s0
	v_add_co_ci_u32_e64 v1, null, v6, v1, vcc_lo
	s_delay_alu instid0(VALU_DEP_1)
	v_cmp_ge_i32_e32 vcc_lo, v1, v6
	s_and_b32 s13, s11, vcc_lo
	s_mov_b32 s11, -1
	s_and_saveexec_b32 s0, s13
	s_cbranch_execz .LBB4_26
; %bb.23:
	s_wait_dscnt 0x0
	v_dual_mov_b32 v5, v3 :: v_dual_add_nc_u32 v1, 1, v0
	v_dual_mov_b32 v4, v3 :: v_dual_bitop2_b32 v13, -2, v12 bitop3:0x40
	v_dual_mov_b32 v6, v2 :: v_dual_mov_b32 v7, v2
	s_delay_alu instid0(VALU_DEP_3) | instskip(NEXT) | instid1(VALU_DEP_3)
	v_mov_b64_e32 v[10:11], v[0:1]
	v_dual_mov_b32 v9, 0 :: v_dual_mov_b32 v14, v13
	s_mov_b32 s11, s2
.LBB4_24:                               ; =>This Inner Loop Header: Depth=1
	s_delay_alu instid0(VALU_DEP_2) | instid1(SALU_CYCLE_1)
	v_dual_mov_b32 v8, v10 :: v_dual_add_nc_u32 v1, s11, v11
	v_add_nc_u32_e32 v15, s2, v10
	s_delay_alu instid0(VALU_DEP_3) | instskip(NEXT) | instid1(VALU_DEP_3)
	v_add_nc_u32_e32 v14, -2, v14
	v_lshlrev_b64_e32 v[16:17], 3, v[8:9]
	v_mov_b32_e32 v8, v11
	s_clause 0x1
	global_load_b64 v[18:19], v15, s[8:9] scale_offset
	global_load_b64 v[20:21], v1, s[8:9] scale_offset
	v_add_nc_u32_e32 v11, 2, v11
	v_cmp_eq_u32_e32 vcc_lo, 0, v14
	v_lshlrev_b64_e32 v[22:23], 3, v[8:9]
	v_add_nc_u64_e32 v[24:25], s[4:5], v[16:17]
	v_add_nc_u64_e32 v[16:17], s[6:7], v[16:17]
	s_or_b32 s10, vcc_lo, s10
	s_delay_alu instid0(VALU_DEP_3)
	v_add_nc_u64_e32 v[26:27], s[4:5], v[22:23]
	v_add_nc_u64_e32 v[22:23], s[6:7], v[22:23]
	global_load_b64 v[28:29], v[24:25], off
	global_load_b64 v[30:31], v[16:17], off
	;; [unrolled: 1-line block ×4, first 2 shown]
	s_wait_loadcnt 0x4
	s_wait_xcnt 0x2
	v_dual_mov_b32 v16, v18 :: v_dual_mov_b32 v17, v20
	v_mov_b32_e32 v20, v19
	s_delay_alu instid0(VALU_DEP_2) | instskip(NEXT) | instid1(VALU_DEP_1)
	v_pk_add_f32 v[16:17], v[16:17], v[4:5] neg_lo:[0,1] neg_hi:[0,1]
	v_pk_mul_f32 v[16:17], v[16:17], v[6:7]
	s_wait_loadcnt 0x2
	s_wait_xcnt 0x0
	v_mov_b32_e32 v22, v30
	v_pk_add_f32 v[18:19], v[20:21], v[4:5] neg_lo:[0,1] neg_hi:[0,1]
	s_wait_loadcnt 0x1
	v_dual_mov_b32 v20, v28 :: v_dual_mov_b32 v21, v32
	s_wait_loadcnt 0x0
	v_dual_mov_b32 v32, v29 :: v_dual_mov_b32 v23, v34
	v_pk_mul_f32 v[18:19], v[18:19], v[6:7]
	v_mov_b32_e32 v34, v31
	s_delay_alu instid0(VALU_DEP_3) | instskip(SKIP_1) | instid1(VALU_DEP_3)
	v_pk_fma_f32 v[16:17], v[20:21], v[16:17], v[22:23]
	v_add_nc_u32_e32 v10, 2, v10
	v_pk_fma_f32 v[18:19], v[32:33], v[18:19], v[34:35]
	s_delay_alu instid0(VALU_DEP_1) | instskip(NEXT) | instid1(VALU_DEP_4)
	v_dual_mov_b32 v20, v16 :: v_dual_mov_b32 v21, v18
	v_mov_b32_e32 v18, v17
	s_clause 0x1
	global_store_b64 v15, v[20:21], s[8:9] scale_offset
	global_store_b64 v1, v[18:19], s[8:9] scale_offset
	s_wait_xcnt 0x0
	s_and_not1_b32 exec_lo, exec_lo, s10
	s_cbranch_execnz .LBB4_24
; %bb.25:
	s_or_b32 exec_lo, exec_lo, s10
	v_cmp_ne_u32_e32 vcc_lo, v12, v13
	v_add_nc_u32_e32 v0, v0, v13
	s_or_not1_b32 s11, vcc_lo, exec_lo
.LBB4_26:
	s_or_b32 exec_lo, exec_lo, s0
	s_delay_alu instid0(SALU_CYCLE_1) | instskip(SKIP_1) | instid1(SALU_CYCLE_1)
	s_and_not1_b32 s0, s1, exec_lo
	s_and_b32 s1, s11, exec_lo
	s_or_b32 s1, s0, s1
.LBB4_27:
	s_or_b32 exec_lo, exec_lo, s3
	s_delay_alu instid0(SALU_CYCLE_1)
	s_and_b32 exec_lo, exec_lo, s1
	s_cbranch_execz .LBB4_30
; %bb.28:
	s_wait_dscnt 0x0
	v_dual_mov_b32 v1, 0 :: v_dual_mov_b32 v4, v3
	v_dual_mov_b32 v5, v3 :: v_dual_mov_b32 v3, v2
	s_mov_b32 s1, 0
	s_delay_alu instid0(VALU_DEP_2)
	v_lshlrev_b64_e32 v[6:7], 3, v[0:1]
	s_lshl_b32 s0, s12, 3
	s_mov_b32 s3, s1
.LBB4_29:                               ; =>This Inner Loop Header: Depth=1
	v_dual_add_nc_u32 v1, s2, v0 :: v_dual_add_nc_u32 v0, s12, v0
	s_delay_alu instid0(VALU_DEP_2)
	v_add_nc_u64_e32 v[10:11], s[4:5], v[6:7]
	v_add_nc_u64_e32 v[12:13], s[6:7], v[6:7]
	;; [unrolled: 1-line block ×3, first 2 shown]
	global_load_b64 v[8:9], v1, s[8:9] scale_offset
	v_cmp_le_i32_e32 vcc_lo, s14, v0
	global_load_b64 v[14:15], v[10:11], off
	global_load_b64 v[16:17], v[12:13], off
	s_or_b32 s3, vcc_lo, s3
	s_wait_loadcnt 0x2
	v_pk_add_f32 v[8:9], v[8:9], v[4:5] neg_lo:[0,1] neg_hi:[0,1]
	s_delay_alu instid0(VALU_DEP_1) | instskip(SKIP_1) | instid1(VALU_DEP_1)
	v_pk_mul_f32 v[8:9], v[8:9], v[2:3]
	s_wait_loadcnt 0x0
	v_pk_fma_f32 v[8:9], v[14:15], v[8:9], v[16:17]
	global_store_b64 v1, v[8:9], s[8:9] scale_offset
	s_wait_xcnt 0x0
	s_and_not1_b32 exec_lo, exec_lo, s3
	s_cbranch_execnz .LBB4_29
.LBB4_30:
	s_endpgm
	.section	.rodata,"a",@progbits
	.p2align	6, 0x0
	.amdhsa_kernel _Z35generalAddBiasResidualPostLayerNormIfLi64EEvPT_PKS0_S3_S3_S3_fi
		.amdhsa_group_segment_fixed_size 72
		.amdhsa_private_segment_fixed_size 0
		.amdhsa_kernarg_size 304
		.amdhsa_user_sgpr_count 2
		.amdhsa_user_sgpr_dispatch_ptr 0
		.amdhsa_user_sgpr_queue_ptr 0
		.amdhsa_user_sgpr_kernarg_segment_ptr 1
		.amdhsa_user_sgpr_dispatch_id 0
		.amdhsa_user_sgpr_kernarg_preload_length 0
		.amdhsa_user_sgpr_kernarg_preload_offset 0
		.amdhsa_user_sgpr_private_segment_size 0
		.amdhsa_wavefront_size32 1
		.amdhsa_uses_dynamic_stack 0
		.amdhsa_enable_private_segment 0
		.amdhsa_system_sgpr_workgroup_id_x 1
		.amdhsa_system_sgpr_workgroup_id_y 0
		.amdhsa_system_sgpr_workgroup_id_z 0
		.amdhsa_system_sgpr_workgroup_info 0
		.amdhsa_system_vgpr_workitem_id 0
		.amdhsa_next_free_vgpr 36
		.amdhsa_next_free_sgpr 18
		.amdhsa_named_barrier_count 0
		.amdhsa_reserve_vcc 1
		.amdhsa_float_round_mode_32 0
		.amdhsa_float_round_mode_16_64 0
		.amdhsa_float_denorm_mode_32 3
		.amdhsa_float_denorm_mode_16_64 3
		.amdhsa_fp16_overflow 0
		.amdhsa_memory_ordered 1
		.amdhsa_forward_progress 1
		.amdhsa_inst_pref_size 19
		.amdhsa_round_robin_scheduling 0
		.amdhsa_exception_fp_ieee_invalid_op 0
		.amdhsa_exception_fp_denorm_src 0
		.amdhsa_exception_fp_ieee_div_zero 0
		.amdhsa_exception_fp_ieee_overflow 0
		.amdhsa_exception_fp_ieee_underflow 0
		.amdhsa_exception_fp_ieee_inexact 0
		.amdhsa_exception_int_div_zero 0
	.end_amdhsa_kernel
	.section	.text._Z35generalAddBiasResidualPostLayerNormIfLi64EEvPT_PKS0_S3_S3_S3_fi,"axG",@progbits,_Z35generalAddBiasResidualPostLayerNormIfLi64EEvPT_PKS0_S3_S3_S3_fi,comdat
.Lfunc_end4:
	.size	_Z35generalAddBiasResidualPostLayerNormIfLi64EEvPT_PKS0_S3_S3_S3_fi, .Lfunc_end4-_Z35generalAddBiasResidualPostLayerNormIfLi64EEvPT_PKS0_S3_S3_S3_fi
                                        ; -- End function
	.set _Z35generalAddBiasResidualPostLayerNormIfLi64EEvPT_PKS0_S3_S3_S3_fi.num_vgpr, 36
	.set _Z35generalAddBiasResidualPostLayerNormIfLi64EEvPT_PKS0_S3_S3_S3_fi.num_agpr, 0
	.set _Z35generalAddBiasResidualPostLayerNormIfLi64EEvPT_PKS0_S3_S3_S3_fi.numbered_sgpr, 18
	.set _Z35generalAddBiasResidualPostLayerNormIfLi64EEvPT_PKS0_S3_S3_S3_fi.num_named_barrier, 0
	.set _Z35generalAddBiasResidualPostLayerNormIfLi64EEvPT_PKS0_S3_S3_S3_fi.private_seg_size, 0
	.set _Z35generalAddBiasResidualPostLayerNormIfLi64EEvPT_PKS0_S3_S3_S3_fi.uses_vcc, 1
	.set _Z35generalAddBiasResidualPostLayerNormIfLi64EEvPT_PKS0_S3_S3_S3_fi.uses_flat_scratch, 0
	.set _Z35generalAddBiasResidualPostLayerNormIfLi64EEvPT_PKS0_S3_S3_S3_fi.has_dyn_sized_stack, 0
	.set _Z35generalAddBiasResidualPostLayerNormIfLi64EEvPT_PKS0_S3_S3_S3_fi.has_recursion, 0
	.set _Z35generalAddBiasResidualPostLayerNormIfLi64EEvPT_PKS0_S3_S3_S3_fi.has_indirect_call, 0
	.section	.AMDGPU.csdata,"",@progbits
; Kernel info:
; codeLenInByte = 2396
; TotalNumSgprs: 20
; NumVgprs: 36
; ScratchSize: 0
; MemoryBound: 0
; FloatMode: 240
; IeeeMode: 1
; LDSByteSize: 72 bytes/workgroup (compile time only)
; SGPRBlocks: 0
; VGPRBlocks: 2
; NumSGPRsForWavesPerEU: 20
; NumVGPRsForWavesPerEU: 36
; NamedBarCnt: 0
; Occupancy: 16
; WaveLimiterHint : 0
; COMPUTE_PGM_RSRC2:SCRATCH_EN: 0
; COMPUTE_PGM_RSRC2:USER_SGPR: 2
; COMPUTE_PGM_RSRC2:TRAP_HANDLER: 0
; COMPUTE_PGM_RSRC2:TGID_X_EN: 1
; COMPUTE_PGM_RSRC2:TGID_Y_EN: 0
; COMPUTE_PGM_RSRC2:TGID_Z_EN: 0
; COMPUTE_PGM_RSRC2:TIDIG_COMP_CNT: 0
	.section	.text._Z28addBiasResidualPostLayerNormIfLi1ELi32EEvPT_PKS0_S3_S3_S3_fi,"axG",@progbits,_Z28addBiasResidualPostLayerNormIfLi1ELi32EEvPT_PKS0_S3_S3_S3_fi,comdat
	.protected	_Z28addBiasResidualPostLayerNormIfLi1ELi32EEvPT_PKS0_S3_S3_S3_fi ; -- Begin function _Z28addBiasResidualPostLayerNormIfLi1ELi32EEvPT_PKS0_S3_S3_S3_fi
	.globl	_Z28addBiasResidualPostLayerNormIfLi1ELi32EEvPT_PKS0_S3_S3_S3_fi
	.p2align	8
	.type	_Z28addBiasResidualPostLayerNormIfLi1ELi32EEvPT_PKS0_S3_S3_S3_fi,@function
_Z28addBiasResidualPostLayerNormIfLi1ELi32EEvPT_PKS0_S3_S3_S3_fi: ; @_Z28addBiasResidualPostLayerNormIfLi1ELi32EEvPT_PKS0_S3_S3_S3_fi
; %bb.0:
	s_clause 0x1
	s_load_b64 s[8:9], s[0:1], 0x28
	s_load_b64 s[6:7], s[0:1], 0x0
	v_mov_b32_e32 v4, 0
	s_getreg_b32 s10, hwreg(HW_REG_IB_STS2, 6, 4)
                                        ; implicit-def: $vgpr1
	s_wait_kmcnt 0x0
	v_cmp_gt_i32_e64 s2, s9, v0
	s_and_saveexec_b32 s3, s2
	s_cbranch_execz .LBB5_2
; %bb.1:
	s_bfe_u32 s4, ttmp6, 0x4000c
	s_load_b128 s[12:15], s[0:1], 0x8
	s_add_co_i32 s4, s4, 1
	s_and_b32 s5, ttmp6, 15
	s_mul_i32 s4, ttmp9, s4
	s_delay_alu instid0(SALU_CYCLE_1) | instskip(SKIP_2) | instid1(SALU_CYCLE_1)
	s_add_co_i32 s5, s5, s4
	s_cmp_eq_u32 s10, 0
	s_cselect_b32 s4, ttmp9, s5
	v_mad_u32 v1, s9, s4, v0
	global_load_b32 v2, v1, s[6:7] scale_offset
	s_wait_kmcnt 0x0
	global_load_b32 v3, v1, s[12:13] scale_offset
	global_load_b32 v4, v0, s[14:15] scale_offset
	s_wait_loadcnt 0x1
	s_wait_xcnt 0x1
	v_add_f32_e32 v1, v2, v3
	s_wait_loadcnt 0x0
	s_delay_alu instid0(VALU_DEP_1) | instskip(NEXT) | instid1(VALU_DEP_1)
	v_add_f32_e32 v1, v1, v4
	v_add_f32_e32 v4, 0, v1
.LBB5_2:
	s_or_b32 exec_lo, exec_lo, s3
	v_mbcnt_lo_u32_b32 v6, -1, 0
	s_delay_alu instid0(VALU_DEP_1) | instskip(SKIP_2) | instid1(VALU_DEP_2)
	v_xor_b32_e32 v3, 8, v6
	v_xor_b32_e32 v2, 16, v6
	;; [unrolled: 1-line block ×3, first 2 shown]
	v_cmp_gt_i32_e32 vcc_lo, 32, v2
	v_cndmask_b32_e32 v2, v6, v2, vcc_lo
	v_cmp_gt_i32_e32 vcc_lo, 32, v3
	v_cndmask_b32_e32 v3, v6, v3, vcc_lo
	s_delay_alu instid0(VALU_DEP_1)
	v_dual_lshlrev_b32 v3, 2, v3 :: v_dual_lshlrev_b32 v2, 2, v2
	ds_bpermute_b32 v5, v2, v4
	s_wait_dscnt 0x0
	v_add_f32_e32 v5, v4, v5
	ds_bpermute_b32 v7, v3, v5
	s_wait_dscnt 0x0
	v_dual_add_f32 v7, v5, v7 :: v_dual_bitop2_b32 v4, 4, v6 bitop3:0x14
	s_delay_alu instid0(VALU_DEP_1) | instskip(SKIP_1) | instid1(VALU_DEP_1)
	v_cmp_gt_i32_e32 vcc_lo, 32, v4
	v_dual_cndmask_b32 v4, v6, v4, vcc_lo :: v_dual_bitop2_b32 v5, 2, v6 bitop3:0x14
	v_cmp_gt_i32_e32 vcc_lo, 32, v5
	s_delay_alu instid0(VALU_DEP_2) | instskip(SKIP_4) | instid1(VALU_DEP_2)
	v_lshlrev_b32_e32 v4, 2, v4
	ds_bpermute_b32 v8, v4, v7
	v_cndmask_b32_e32 v5, v6, v5, vcc_lo
	v_cmp_gt_i32_e32 vcc_lo, 32, v9
	s_wait_dscnt 0x0
	v_dual_add_f32 v7, v7, v8 :: v_dual_lshlrev_b32 v5, 2, v5
	ds_bpermute_b32 v8, v5, v7
	s_wait_dscnt 0x0
	v_dual_cndmask_b32 v6, v6, v9 :: v_dual_add_f32 v9, v7, v8
	s_delay_alu instid0(VALU_DEP_1)
	v_dual_lshlrev_b32 v6, 2, v6 :: v_dual_bitop2_b32 v8, 31, v0 bitop3:0x40
	v_lshrrev_b32_e32 v7, 3, v0
	ds_bpermute_b32 v10, v6, v9
	v_cmp_eq_u32_e64 s3, 0, v8
	s_and_saveexec_b32 s4, s3
	s_cbranch_execz .LBB5_4
; %bb.3:
	s_wait_dscnt 0x0
	v_add_f32_e32 v9, v9, v10
	ds_store_b32 v7, v9
.LBB5_4:
	s_or_b32 exec_lo, exec_lo, s4
	s_wait_dscnt 0x0
	s_barrier_signal -1
	s_barrier_wait -1
	s_load_b32 s4, s[0:1], 0x3c
	v_dual_mov_b32 v9, 0 :: v_dual_lshlrev_b32 v8, 2, v8
	s_wait_kmcnt 0x0
	s_bfe_u32 s4, s4, 0xb0005
	s_delay_alu instid0(SALU_CYCLE_1)
	v_cmp_gt_u32_e64 s4, s4, v0
	s_and_saveexec_b32 s5, s4
; %bb.5:
	ds_load_b32 v9, v8
; %bb.6:
	s_or_b32 exec_lo, exec_lo, s5
	s_wait_dscnt 0x0
	ds_bpermute_b32 v10, v2, v9
	v_cmp_eq_u32_e64 s5, 0, v0
	s_cvt_f32_i32 s11, s9
	s_wait_dscnt 0x0
	v_add_f32_e32 v9, v9, v10
	ds_bpermute_b32 v10, v3, v9
	s_wait_dscnt 0x0
	v_add_f32_e32 v9, v9, v10
	ds_bpermute_b32 v10, v4, v9
	;; [unrolled: 3-line block ×4, first 2 shown]
	s_and_saveexec_b32 s12, s5
	s_cbranch_execz .LBB5_8
; %bb.7:
	s_wait_dscnt 0x0
	v_add_f32_e32 v9, v9, v10
	s_delay_alu instid0(VALU_DEP_1) | instskip(NEXT) | instid1(VALU_DEP_1)
	v_div_scale_f32 v10, null, s11, s11, v9
	v_rcp_f32_e32 v11, v10
	v_nop
	s_delay_alu instid0(TRANS32_DEP_1) | instskip(NEXT) | instid1(VALU_DEP_1)
	v_fma_f32 v12, -v10, v11, 1.0
	v_fmac_f32_e32 v11, v12, v11
	v_div_scale_f32 v13, vcc_lo, v9, s11, v9
	s_delay_alu instid0(VALU_DEP_1) | instskip(NEXT) | instid1(VALU_DEP_1)
	v_mul_f32_e32 v12, v13, v11
	v_fma_f32 v14, -v10, v12, v13
	s_delay_alu instid0(VALU_DEP_1) | instskip(NEXT) | instid1(VALU_DEP_1)
	v_fmac_f32_e32 v12, v14, v11
	v_fma_f32 v10, -v10, v12, v13
	s_delay_alu instid0(VALU_DEP_1) | instskip(NEXT) | instid1(VALU_DEP_1)
	v_div_fmas_f32 v10, v10, v11, v12
	v_div_fixup_f32 v9, v10, s11, v9
	v_mov_b32_e32 v10, 0
	ds_store_b32 v10, v9 offset:132
.LBB5_8:
	s_or_b32 exec_lo, exec_lo, s12
	v_mov_b32_e32 v9, 0
	s_wait_dscnt 0x0
	s_barrier_signal -1
	s_barrier_wait -1
	ds_load_b32 v10, v9 offset:132
	s_wait_dscnt 0x0
	v_sub_f32_e32 v10, v1, v10
	s_delay_alu instid0(VALU_DEP_1) | instskip(NEXT) | instid1(VALU_DEP_1)
	v_mul_f32_e32 v10, v10, v10
	v_cndmask_b32_e64 v10, 0, v10, s2
	ds_bpermute_b32 v11, v2, v10
	s_wait_dscnt 0x0
	v_add_f32_e32 v10, v10, v11
	ds_bpermute_b32 v11, v3, v10
	s_wait_dscnt 0x0
	v_add_f32_e32 v10, v10, v11
	;; [unrolled: 3-line block ×4, first 2 shown]
	ds_bpermute_b32 v11, v6, v10
	s_and_saveexec_b32 s12, s3
	s_cbranch_execz .LBB5_10
; %bb.9:
	s_wait_dscnt 0x0
	v_add_f32_e32 v10, v10, v11
	ds_store_b32 v7, v10
.LBB5_10:
	s_or_b32 exec_lo, exec_lo, s12
	s_wait_dscnt 0x0
	s_barrier_signal -1
	s_barrier_wait -1
	s_and_saveexec_b32 s3, s4
; %bb.11:
	ds_load_b32 v9, v8
; %bb.12:
	s_or_b32 exec_lo, exec_lo, s3
	s_wait_dscnt 0x0
	ds_bpermute_b32 v2, v2, v9
	s_wait_dscnt 0x0
	v_add_f32_e32 v2, v9, v2
	ds_bpermute_b32 v3, v3, v2
	s_wait_dscnt 0x0
	v_add_f32_e32 v2, v2, v3
	ds_bpermute_b32 v3, v4, v2
	s_wait_dscnt 0x0
	v_add_f32_e32 v2, v2, v3
	ds_bpermute_b32 v3, v5, v2
	s_wait_dscnt 0x0
	v_add_f32_e32 v2, v2, v3
	ds_bpermute_b32 v3, v6, v2
	s_and_saveexec_b32 s3, s5
	s_cbranch_execz .LBB5_14
; %bb.13:
	s_wait_dscnt 0x0
	v_add_f32_e32 v2, v2, v3
	s_delay_alu instid0(VALU_DEP_1) | instskip(NEXT) | instid1(VALU_DEP_1)
	v_div_scale_f32 v3, null, s11, s11, v2
	v_rcp_f32_e32 v4, v3
	v_nop
	s_delay_alu instid0(TRANS32_DEP_1) | instskip(NEXT) | instid1(VALU_DEP_1)
	v_fma_f32 v5, -v3, v4, 1.0
	v_fmac_f32_e32 v4, v5, v4
	v_div_scale_f32 v6, vcc_lo, v2, s11, v2
	s_delay_alu instid0(VALU_DEP_1) | instskip(NEXT) | instid1(VALU_DEP_1)
	v_mul_f32_e32 v5, v6, v4
	v_fma_f32 v7, -v3, v5, v6
	s_delay_alu instid0(VALU_DEP_1) | instskip(NEXT) | instid1(VALU_DEP_1)
	v_fmac_f32_e32 v5, v7, v4
	v_fma_f32 v3, -v3, v5, v6
	s_delay_alu instid0(VALU_DEP_1) | instskip(NEXT) | instid1(VALU_DEP_1)
	v_div_fmas_f32 v3, v3, v4, v5
	v_div_fixup_f32 v2, v3, s11, v2
	s_delay_alu instid0(VALU_DEP_1)
	v_dual_mov_b32 v3, 0 :: v_dual_add_f32 v2, s8, v2
	ds_store_b32 v3, v2 offset:128
.LBB5_14:
	s_or_b32 exec_lo, exec_lo, s3
	s_wait_dscnt 0x0
	s_barrier_signal -1
	s_barrier_wait -1
	s_and_saveexec_b32 s3, s2
	s_cbranch_execz .LBB5_16
; %bb.15:
	s_load_b128 s[12:15], s[0:1], 0x18
	v_mov_b32_e32 v2, 0
	s_wait_kmcnt 0x0
	s_clause 0x1
	global_load_b32 v4, v0, s[12:13] scale_offset
	global_load_b32 v5, v0, s[14:15] scale_offset
	ds_load_b64 v[2:3], v2 offset:128
	s_wait_dscnt 0x0
	v_readfirstlane_b32 s0, v2
	v_sub_f32_e32 v1, v1, v3
	s_cmp_lt_f32 s0, 0x800000
	s_mul_f32 s1, s0, 0x4b800000
	s_delay_alu instid0(SALU_CYCLE_3) | instskip(NEXT) | instid1(SALU_CYCLE_1)
	s_cselect_b32 s0, s1, s0
	v_s_rsq_f32 s0, s0
	s_delay_alu instid0(TRANS32_DEP_1) | instskip(NEXT) | instid1(SALU_CYCLE_3)
	s_mul_f32 s1, s0, 0x45800000
	s_cselect_b32 s0, s1, s0
	s_bfe_u32 s1, ttmp6, 0x4000c
	s_and_b32 s2, ttmp6, 15
	s_add_co_i32 s1, s1, 1
	v_nop
	v_mul_f32_e32 v1, s0, v1
	s_mul_i32 s1, ttmp9, s1
	s_delay_alu instid0(SALU_CYCLE_1)
	s_add_co_i32 s2, s2, s1
	s_cmp_eq_u32 s10, 0
	s_cselect_b32 s1, ttmp9, s2
	s_wait_xcnt 0x0
	v_mad_u32 v0, s9, s1, v0
	s_wait_loadcnt 0x0
	v_fmac_f32_e32 v5, v4, v1
	global_store_b32 v0, v5, s[6:7] scale_offset
.LBB5_16:
	s_endpgm
	.section	.rodata,"a",@progbits
	.p2align	6, 0x0
	.amdhsa_kernel _Z28addBiasResidualPostLayerNormIfLi1ELi32EEvPT_PKS0_S3_S3_S3_fi
		.amdhsa_group_segment_fixed_size 136
		.amdhsa_private_segment_fixed_size 0
		.amdhsa_kernarg_size 304
		.amdhsa_user_sgpr_count 2
		.amdhsa_user_sgpr_dispatch_ptr 0
		.amdhsa_user_sgpr_queue_ptr 0
		.amdhsa_user_sgpr_kernarg_segment_ptr 1
		.amdhsa_user_sgpr_dispatch_id 0
		.amdhsa_user_sgpr_kernarg_preload_length 0
		.amdhsa_user_sgpr_kernarg_preload_offset 0
		.amdhsa_user_sgpr_private_segment_size 0
		.amdhsa_wavefront_size32 1
		.amdhsa_uses_dynamic_stack 0
		.amdhsa_enable_private_segment 0
		.amdhsa_system_sgpr_workgroup_id_x 1
		.amdhsa_system_sgpr_workgroup_id_y 0
		.amdhsa_system_sgpr_workgroup_id_z 0
		.amdhsa_system_sgpr_workgroup_info 0
		.amdhsa_system_vgpr_workitem_id 0
		.amdhsa_next_free_vgpr 15
		.amdhsa_next_free_sgpr 16
		.amdhsa_named_barrier_count 0
		.amdhsa_reserve_vcc 1
		.amdhsa_float_round_mode_32 0
		.amdhsa_float_round_mode_16_64 0
		.amdhsa_float_denorm_mode_32 3
		.amdhsa_float_denorm_mode_16_64 3
		.amdhsa_fp16_overflow 0
		.amdhsa_memory_ordered 1
		.amdhsa_forward_progress 1
		.amdhsa_inst_pref_size 11
		.amdhsa_round_robin_scheduling 0
		.amdhsa_exception_fp_ieee_invalid_op 0
		.amdhsa_exception_fp_denorm_src 0
		.amdhsa_exception_fp_ieee_div_zero 0
		.amdhsa_exception_fp_ieee_overflow 0
		.amdhsa_exception_fp_ieee_underflow 0
		.amdhsa_exception_fp_ieee_inexact 0
		.amdhsa_exception_int_div_zero 0
	.end_amdhsa_kernel
	.section	.text._Z28addBiasResidualPostLayerNormIfLi1ELi32EEvPT_PKS0_S3_S3_S3_fi,"axG",@progbits,_Z28addBiasResidualPostLayerNormIfLi1ELi32EEvPT_PKS0_S3_S3_S3_fi,comdat
.Lfunc_end5:
	.size	_Z28addBiasResidualPostLayerNormIfLi1ELi32EEvPT_PKS0_S3_S3_S3_fi, .Lfunc_end5-_Z28addBiasResidualPostLayerNormIfLi1ELi32EEvPT_PKS0_S3_S3_S3_fi
                                        ; -- End function
	.set _Z28addBiasResidualPostLayerNormIfLi1ELi32EEvPT_PKS0_S3_S3_S3_fi.num_vgpr, 15
	.set _Z28addBiasResidualPostLayerNormIfLi1ELi32EEvPT_PKS0_S3_S3_S3_fi.num_agpr, 0
	.set _Z28addBiasResidualPostLayerNormIfLi1ELi32EEvPT_PKS0_S3_S3_S3_fi.numbered_sgpr, 16
	.set _Z28addBiasResidualPostLayerNormIfLi1ELi32EEvPT_PKS0_S3_S3_S3_fi.num_named_barrier, 0
	.set _Z28addBiasResidualPostLayerNormIfLi1ELi32EEvPT_PKS0_S3_S3_S3_fi.private_seg_size, 0
	.set _Z28addBiasResidualPostLayerNormIfLi1ELi32EEvPT_PKS0_S3_S3_S3_fi.uses_vcc, 1
	.set _Z28addBiasResidualPostLayerNormIfLi1ELi32EEvPT_PKS0_S3_S3_S3_fi.uses_flat_scratch, 0
	.set _Z28addBiasResidualPostLayerNormIfLi1ELi32EEvPT_PKS0_S3_S3_S3_fi.has_dyn_sized_stack, 0
	.set _Z28addBiasResidualPostLayerNormIfLi1ELi32EEvPT_PKS0_S3_S3_S3_fi.has_recursion, 0
	.set _Z28addBiasResidualPostLayerNormIfLi1ELi32EEvPT_PKS0_S3_S3_S3_fi.has_indirect_call, 0
	.section	.AMDGPU.csdata,"",@progbits
; Kernel info:
; codeLenInByte = 1300
; TotalNumSgprs: 18
; NumVgprs: 15
; ScratchSize: 0
; MemoryBound: 0
; FloatMode: 240
; IeeeMode: 1
; LDSByteSize: 136 bytes/workgroup (compile time only)
; SGPRBlocks: 0
; VGPRBlocks: 0
; NumSGPRsForWavesPerEU: 18
; NumVGPRsForWavesPerEU: 15
; NamedBarCnt: 0
; Occupancy: 16
; WaveLimiterHint : 0
; COMPUTE_PGM_RSRC2:SCRATCH_EN: 0
; COMPUTE_PGM_RSRC2:USER_SGPR: 2
; COMPUTE_PGM_RSRC2:TRAP_HANDLER: 0
; COMPUTE_PGM_RSRC2:TGID_X_EN: 1
; COMPUTE_PGM_RSRC2:TGID_Y_EN: 0
; COMPUTE_PGM_RSRC2:TGID_Z_EN: 0
; COMPUTE_PGM_RSRC2:TIDIG_COMP_CNT: 0
	.section	.text._Z28addBiasResidualPostLayerNormIfLi2ELi32EEvPT_PKS0_S3_S3_S3_fi,"axG",@progbits,_Z28addBiasResidualPostLayerNormIfLi2ELi32EEvPT_PKS0_S3_S3_S3_fi,comdat
	.protected	_Z28addBiasResidualPostLayerNormIfLi2ELi32EEvPT_PKS0_S3_S3_S3_fi ; -- Begin function _Z28addBiasResidualPostLayerNormIfLi2ELi32EEvPT_PKS0_S3_S3_S3_fi
	.globl	_Z28addBiasResidualPostLayerNormIfLi2ELi32EEvPT_PKS0_S3_S3_S3_fi
	.p2align	8
	.type	_Z28addBiasResidualPostLayerNormIfLi2ELi32EEvPT_PKS0_S3_S3_S3_fi,@function
_Z28addBiasResidualPostLayerNormIfLi2ELi32EEvPT_PKS0_S3_S3_S3_fi: ; @_Z28addBiasResidualPostLayerNormIfLi2ELi32EEvPT_PKS0_S3_S3_S3_fi
; %bb.0:
	s_clause 0x1
	s_load_b64 s[10:11], s[0:1], 0x28
	s_load_b64 s[8:9], s[0:1], 0x0
	v_dual_mov_b32 v5, 0 :: v_dual_mov_b32 v4, 0
	v_mov_b32_e32 v3, 0
	s_getreg_b32 s14, hwreg(HW_REG_IB_STS2, 6, 4)
	s_wait_kmcnt 0x0
	v_cmp_gt_i32_e64 s2, s11, v0
	s_and_saveexec_b32 s3, s2
	s_cbranch_execz .LBB6_4
; %bb.1:
	s_load_b128 s[4:7], s[0:1], 0x8
	s_bfe_u32 s12, ttmp6, 0x4000c
	s_and_b32 s13, ttmp6, 15
	s_add_co_i32 s12, s12, 1
	s_mov_b32 s15, exec_lo
	s_mul_i32 s12, ttmp9, s12
	s_delay_alu instid0(SALU_CYCLE_1) | instskip(SKIP_4) | instid1(SALU_CYCLE_1)
	s_add_co_i32 s13, s13, s12
	s_cmp_eq_u32 s14, 0
	s_cselect_b32 s12, ttmp9, s13
	s_load_b32 s13, s[0:1], 0x3c
	s_mul_i32 s12, s11, s12
	v_add_nc_u32_e32 v1, s12, v0
	global_load_b32 v2, v1, s[8:9] scale_offset
	s_wait_kmcnt 0x0
	global_load_b32 v3, v1, s[4:5] scale_offset
	global_load_b32 v4, v0, s[6:7] scale_offset
	s_and_b32 s16, s13, 0xffff
	s_mov_b32 s13, 0
	s_wait_loadcnt 0x1
	s_wait_xcnt 0x1
	v_dual_add_f32 v1, v2, v3 :: v_dual_mov_b32 v3, 0
	s_wait_loadcnt 0x0
	s_delay_alu instid0(VALU_DEP_1) | instskip(SKIP_1) | instid1(VALU_DEP_2)
	v_add_f32_e32 v4, v1, v4
	v_add_nc_u32_e32 v1, s16, v0
	v_add_f32_e32 v5, 0, v4
	s_delay_alu instid0(VALU_DEP_2)
	v_cmpx_gt_u32_e64 s11, v1
	s_cbranch_execz .LBB6_3
; %bb.2:
	v_dual_lshlrev_b32 v2, 2, v0 :: v_dual_add_nc_u32 v1, s12, v1
	s_lshl_b32 s12, s16, 2
	s_delay_alu instid0(VALU_DEP_1) | instskip(NEXT) | instid1(VALU_DEP_1)
	v_add_nc_u64_e32 v[2:3], s[6:7], v[2:3]
	v_add_nc_u64_e32 v[2:3], s[12:13], v[2:3]
	s_clause 0x1
	global_load_b32 v6, v1, s[8:9] scale_offset
	global_load_b32 v7, v1, s[4:5] scale_offset
	global_load_b32 v8, v[2:3], off
	s_wait_loadcnt 0x1
	s_wait_xcnt 0x1
	v_add_f32_e32 v1, v6, v7
	s_wait_loadcnt 0x0
	s_delay_alu instid0(VALU_DEP_1) | instskip(NEXT) | instid1(VALU_DEP_1)
	v_add_f32_e32 v3, v1, v8
	v_add_f32_e32 v5, v5, v3
.LBB6_3:
	s_or_b32 exec_lo, exec_lo, s15
.LBB6_4:
	s_delay_alu instid0(SALU_CYCLE_1) | instskip(SKIP_1) | instid1(VALU_DEP_1)
	s_or_b32 exec_lo, exec_lo, s3
	v_mbcnt_lo_u32_b32 v2, -1, 0
	v_xor_b32_e32 v1, 16, v2
	v_xor_b32_e32 v6, 8, v2
	;; [unrolled: 1-line block ×3, first 2 shown]
	s_delay_alu instid0(VALU_DEP_3) | instskip(SKIP_1) | instid1(VALU_DEP_4)
	v_cmp_gt_i32_e32 vcc_lo, 32, v1
	v_cndmask_b32_e32 v1, v2, v1, vcc_lo
	v_cmp_gt_i32_e32 vcc_lo, 32, v6
	s_delay_alu instid0(VALU_DEP_2) | instskip(SKIP_3) | instid1(VALU_DEP_1)
	v_dual_cndmask_b32 v6, v2, v6 :: v_dual_lshlrev_b32 v1, 2, v1
	ds_bpermute_b32 v7, v1, v5
	s_wait_dscnt 0x0
	v_dual_add_f32 v5, v5, v7 :: v_dual_bitop2_b32 v7, 4, v2 bitop3:0x14
	v_cmp_gt_i32_e32 vcc_lo, 32, v7
	v_dual_cndmask_b32 v7, v2, v7 :: v_dual_lshlrev_b32 v6, 2, v6
	ds_bpermute_b32 v8, v6, v5
	s_wait_dscnt 0x0
	v_dual_lshlrev_b32 v7, 2, v7 :: v_dual_add_f32 v5, v5, v8
	v_xor_b32_e32 v8, 2, v2
	ds_bpermute_b32 v9, v7, v5
	v_cmp_gt_i32_e32 vcc_lo, 32, v8
	v_cndmask_b32_e32 v8, v2, v8, vcc_lo
	v_cmp_gt_i32_e32 vcc_lo, 32, v10
	s_wait_dscnt 0x0
	s_delay_alu instid0(VALU_DEP_2) | instskip(SKIP_3) | instid1(VALU_DEP_1)
	v_dual_add_f32 v5, v5, v9 :: v_dual_lshlrev_b32 v8, 2, v8
	ds_bpermute_b32 v9, v8, v5
	v_dual_cndmask_b32 v2, v2, v10, vcc_lo :: v_dual_lshrrev_b32 v10, 3, v0
	s_wait_dscnt 0x0
	v_dual_add_f32 v5, v5, v9 :: v_dual_lshlrev_b32 v9, 2, v2
	v_and_b32_e32 v2, 31, v0
	ds_bpermute_b32 v11, v9, v5
	v_cmp_eq_u32_e64 s3, 0, v2
	s_and_saveexec_b32 s4, s3
	s_cbranch_execz .LBB6_6
; %bb.5:
	s_wait_dscnt 0x0
	v_add_f32_e32 v5, v5, v11
	ds_store_b32 v10, v5
.LBB6_6:
	s_or_b32 exec_lo, exec_lo, s4
	s_wait_dscnt 0x0
	s_barrier_signal -1
	s_barrier_wait -1
	s_load_b32 s7, s[0:1], 0x3c
	v_dual_mov_b32 v5, 0 :: v_dual_lshlrev_b32 v11, 2, v2
	s_wait_kmcnt 0x0
	s_bfe_u32 s4, s7, 0xb0005
	s_delay_alu instid0(SALU_CYCLE_1)
	v_cmp_gt_u32_e64 s4, s4, v0
	s_and_saveexec_b32 s5, s4
; %bb.7:
	ds_load_b32 v5, v11
; %bb.8:
	s_or_b32 exec_lo, exec_lo, s5
	s_wait_dscnt 0x0
	ds_bpermute_b32 v2, v1, v5
	v_cmp_eq_u32_e64 s5, 0, v0
	s_cvt_f32_i32 s6, s11
	s_wait_dscnt 0x0
	v_add_f32_e32 v2, v5, v2
	ds_bpermute_b32 v5, v6, v2
	s_wait_dscnt 0x0
	v_add_f32_e32 v2, v2, v5
	ds_bpermute_b32 v5, v7, v2
	;; [unrolled: 3-line block ×4, first 2 shown]
	s_and_saveexec_b32 s12, s5
	s_cbranch_execz .LBB6_10
; %bb.9:
	s_wait_dscnt 0x0
	v_add_f32_e32 v2, v2, v5
	s_delay_alu instid0(VALU_DEP_1) | instskip(NEXT) | instid1(VALU_DEP_1)
	v_div_scale_f32 v5, null, s6, s6, v2
	v_rcp_f32_e32 v12, v5
	v_nop
	s_delay_alu instid0(TRANS32_DEP_1) | instskip(NEXT) | instid1(VALU_DEP_1)
	v_fma_f32 v13, -v5, v12, 1.0
	v_fmac_f32_e32 v12, v13, v12
	v_div_scale_f32 v14, vcc_lo, v2, s6, v2
	s_delay_alu instid0(VALU_DEP_1) | instskip(NEXT) | instid1(VALU_DEP_1)
	v_mul_f32_e32 v13, v14, v12
	v_fma_f32 v15, -v5, v13, v14
	s_delay_alu instid0(VALU_DEP_1) | instskip(NEXT) | instid1(VALU_DEP_1)
	v_fmac_f32_e32 v13, v15, v12
	v_fma_f32 v5, -v5, v13, v14
	s_delay_alu instid0(VALU_DEP_1) | instskip(NEXT) | instid1(VALU_DEP_1)
	v_div_fmas_f32 v5, v5, v12, v13
	v_div_fixup_f32 v2, v5, s6, v2
	v_mov_b32_e32 v5, 0
	ds_store_b32 v5, v2 offset:132
.LBB6_10:
	s_or_b32 exec_lo, exec_lo, s12
	s_and_b32 s12, 0xffff, s7
	s_wait_dscnt 0x0
	v_dual_mov_b32 v5, 0 :: v_dual_add_nc_u32 v2, s12, v0
	s_barrier_signal -1
	s_barrier_wait -1
	s_and_saveexec_b32 s7, s2
	s_cbranch_execz .LBB6_12
; %bb.11:
	v_mov_b32_e32 v5, 0
	v_cmp_gt_u32_e32 vcc_lo, s11, v2
	ds_load_b32 v12, v5 offset:132
	v_mov_b32_e32 v5, v3
	s_wait_dscnt 0x0
	s_delay_alu instid0(VALU_DEP_1) | instskip(NEXT) | instid1(VALU_DEP_1)
	v_pk_add_f32 v[12:13], v[4:5], v[12:13] op_sel_hi:[1,0] neg_lo:[0,1] neg_hi:[0,1]
	v_pk_mul_f32 v[12:13], v[12:13], v[12:13]
	s_delay_alu instid0(VALU_DEP_1) | instskip(NEXT) | instid1(VALU_DEP_1)
	v_add_f32_e32 v5, v12, v13
	v_cndmask_b32_e32 v5, v12, v5, vcc_lo
.LBB6_12:
	s_or_b32 exec_lo, exec_lo, s7
	ds_bpermute_b32 v12, v1, v5
	s_wait_dscnt 0x0
	v_add_f32_e32 v5, v5, v12
	ds_bpermute_b32 v12, v6, v5
	s_wait_dscnt 0x0
	v_add_f32_e32 v5, v5, v12
	;; [unrolled: 3-line block ×4, first 2 shown]
	ds_bpermute_b32 v12, v9, v5
	s_and_saveexec_b32 s7, s3
	s_cbranch_execz .LBB6_14
; %bb.13:
	s_wait_dscnt 0x0
	v_add_f32_e32 v5, v5, v12
	ds_store_b32 v10, v5
.LBB6_14:
	s_or_b32 exec_lo, exec_lo, s7
	v_mov_b32_e32 v5, 0
	s_wait_dscnt 0x0
	s_barrier_signal -1
	s_barrier_wait -1
	s_and_saveexec_b32 s3, s4
; %bb.15:
	ds_load_b32 v5, v11
; %bb.16:
	s_or_b32 exec_lo, exec_lo, s3
	s_wait_dscnt 0x0
	ds_bpermute_b32 v1, v1, v5
	s_wait_dscnt 0x0
	v_add_f32_e32 v1, v5, v1
	ds_bpermute_b32 v5, v6, v1
	s_wait_dscnt 0x0
	v_add_f32_e32 v1, v1, v5
	;; [unrolled: 3-line block ×4, first 2 shown]
	ds_bpermute_b32 v5, v9, v1
	s_and_saveexec_b32 s3, s5
	s_cbranch_execz .LBB6_18
; %bb.17:
	s_wait_dscnt 0x0
	v_add_f32_e32 v1, v1, v5
	s_delay_alu instid0(VALU_DEP_1) | instskip(NEXT) | instid1(VALU_DEP_1)
	v_div_scale_f32 v5, null, s6, s6, v1
	v_rcp_f32_e32 v6, v5
	v_nop
	s_delay_alu instid0(TRANS32_DEP_1) | instskip(NEXT) | instid1(VALU_DEP_1)
	v_fma_f32 v7, -v5, v6, 1.0
	v_fmac_f32_e32 v6, v7, v6
	v_div_scale_f32 v8, vcc_lo, v1, s6, v1
	s_delay_alu instid0(VALU_DEP_1) | instskip(NEXT) | instid1(VALU_DEP_1)
	v_mul_f32_e32 v7, v8, v6
	v_fma_f32 v9, -v5, v7, v8
	s_delay_alu instid0(VALU_DEP_1) | instskip(NEXT) | instid1(VALU_DEP_1)
	v_fmac_f32_e32 v7, v9, v6
	v_fma_f32 v5, -v5, v7, v8
	s_delay_alu instid0(VALU_DEP_1) | instskip(NEXT) | instid1(VALU_DEP_1)
	v_div_fmas_f32 v5, v5, v6, v7
	v_div_fixup_f32 v1, v5, s6, v1
	s_delay_alu instid0(VALU_DEP_1)
	v_dual_mov_b32 v5, 0 :: v_dual_add_f32 v1, s10, v1
	ds_store_b32 v5, v1 offset:128
.LBB6_18:
	s_or_b32 exec_lo, exec_lo, s3
	s_wait_dscnt 0x0
	s_barrier_signal -1
	s_barrier_wait -1
	s_and_saveexec_b32 s3, s2
	s_cbranch_execz .LBB6_21
; %bb.19:
	s_load_b128 s[4:7], s[0:1], 0x18
	v_mov_b32_e32 v1, 0
	v_cmp_gt_u32_e32 vcc_lo, s11, v2
	s_wait_kmcnt 0x0
	s_clause 0x1
	global_load_b32 v5, v0, s[4:5] scale_offset
	global_load_b32 v8, v0, s[6:7] scale_offset
	ds_load_b64 v[6:7], v1 offset:128
	s_wait_dscnt 0x0
	v_readfirstlane_b32 s0, v6
	v_sub_f32_e32 v4, v4, v7
	s_cmp_lt_f32 s0, 0x800000
	s_mul_f32 s1, s0, 0x4b800000
	s_delay_alu instid0(SALU_CYCLE_3) | instskip(NEXT) | instid1(SALU_CYCLE_1)
	s_cselect_b32 s0, s1, s0
	v_s_rsq_f32 s0, s0
	s_delay_alu instid0(TRANS32_DEP_1) | instskip(NEXT) | instid1(SALU_CYCLE_3)
	s_mul_f32 s1, s0, 0x45800000
	s_cselect_b32 s2, s1, s0
	s_bfe_u32 s0, ttmp6, 0x4000c
	s_and_b32 s1, ttmp6, 15
	s_add_co_i32 s0, s0, 1
	v_mul_f32_e32 v4, s2, v4
	s_mul_i32 s0, ttmp9, s0
	s_delay_alu instid0(SALU_CYCLE_1)
	s_add_co_i32 s1, s1, s0
	s_cmp_eq_u32 s14, 0
	s_cselect_b32 s0, ttmp9, s1
	s_mov_b32 s1, 0
	s_mul_i32 s3, s11, s0
	s_wait_loadcnt 0x0
	v_fmac_f32_e32 v8, v5, v4
	v_add_nc_u32_e32 v4, s3, v0
	global_store_b32 v4, v8, s[8:9] scale_offset
	s_wait_xcnt 0x0
	s_and_b32 exec_lo, exec_lo, vcc_lo
	s_cbranch_execz .LBB6_21
; %bb.20:
	v_lshlrev_b32_e32 v0, 2, v0
	s_lshl_b32 s0, s12, 2
	s_delay_alu instid0(VALU_DEP_1) | instskip(SKIP_1) | instid1(VALU_DEP_2)
	v_add_nc_u64_e32 v[4:5], s[4:5], v[0:1]
	v_add_nc_u64_e32 v[0:1], s[6:7], v[0:1]
	;; [unrolled: 1-line block ×3, first 2 shown]
	s_delay_alu instid0(VALU_DEP_2) | instskip(SKIP_4) | instid1(VALU_DEP_1)
	v_add_nc_u64_e32 v[0:1], s[0:1], v[0:1]
	global_load_b32 v6, v[4:5], off
	global_load_b32 v8, v[0:1], off
	s_wait_xcnt 0x0
	v_sub_f32_e32 v0, v3, v7
	v_mul_f32_e32 v0, s2, v0
	s_wait_loadcnt 0x0
	s_delay_alu instid0(VALU_DEP_1)
	v_dual_fmac_f32 v8, v6, v0 :: v_dual_add_nc_u32 v0, s3, v2
	global_store_b32 v0, v8, s[8:9] scale_offset
.LBB6_21:
	s_endpgm
	.section	.rodata,"a",@progbits
	.p2align	6, 0x0
	.amdhsa_kernel _Z28addBiasResidualPostLayerNormIfLi2ELi32EEvPT_PKS0_S3_S3_S3_fi
		.amdhsa_group_segment_fixed_size 136
		.amdhsa_private_segment_fixed_size 0
		.amdhsa_kernarg_size 304
		.amdhsa_user_sgpr_count 2
		.amdhsa_user_sgpr_dispatch_ptr 0
		.amdhsa_user_sgpr_queue_ptr 0
		.amdhsa_user_sgpr_kernarg_segment_ptr 1
		.amdhsa_user_sgpr_dispatch_id 0
		.amdhsa_user_sgpr_kernarg_preload_length 0
		.amdhsa_user_sgpr_kernarg_preload_offset 0
		.amdhsa_user_sgpr_private_segment_size 0
		.amdhsa_wavefront_size32 1
		.amdhsa_uses_dynamic_stack 0
		.amdhsa_enable_private_segment 0
		.amdhsa_system_sgpr_workgroup_id_x 1
		.amdhsa_system_sgpr_workgroup_id_y 0
		.amdhsa_system_sgpr_workgroup_id_z 0
		.amdhsa_system_sgpr_workgroup_info 0
		.amdhsa_system_vgpr_workitem_id 0
		.amdhsa_next_free_vgpr 16
		.amdhsa_next_free_sgpr 17
		.amdhsa_named_barrier_count 0
		.amdhsa_reserve_vcc 1
		.amdhsa_float_round_mode_32 0
		.amdhsa_float_round_mode_16_64 0
		.amdhsa_float_denorm_mode_32 3
		.amdhsa_float_denorm_mode_16_64 3
		.amdhsa_fp16_overflow 0
		.amdhsa_memory_ordered 1
		.amdhsa_forward_progress 1
		.amdhsa_inst_pref_size 13
		.amdhsa_round_robin_scheduling 0
		.amdhsa_exception_fp_ieee_invalid_op 0
		.amdhsa_exception_fp_denorm_src 0
		.amdhsa_exception_fp_ieee_div_zero 0
		.amdhsa_exception_fp_ieee_overflow 0
		.amdhsa_exception_fp_ieee_underflow 0
		.amdhsa_exception_fp_ieee_inexact 0
		.amdhsa_exception_int_div_zero 0
	.end_amdhsa_kernel
	.section	.text._Z28addBiasResidualPostLayerNormIfLi2ELi32EEvPT_PKS0_S3_S3_S3_fi,"axG",@progbits,_Z28addBiasResidualPostLayerNormIfLi2ELi32EEvPT_PKS0_S3_S3_S3_fi,comdat
.Lfunc_end6:
	.size	_Z28addBiasResidualPostLayerNormIfLi2ELi32EEvPT_PKS0_S3_S3_S3_fi, .Lfunc_end6-_Z28addBiasResidualPostLayerNormIfLi2ELi32EEvPT_PKS0_S3_S3_S3_fi
                                        ; -- End function
	.set _Z28addBiasResidualPostLayerNormIfLi2ELi32EEvPT_PKS0_S3_S3_S3_fi.num_vgpr, 16
	.set _Z28addBiasResidualPostLayerNormIfLi2ELi32EEvPT_PKS0_S3_S3_S3_fi.num_agpr, 0
	.set _Z28addBiasResidualPostLayerNormIfLi2ELi32EEvPT_PKS0_S3_S3_S3_fi.numbered_sgpr, 17
	.set _Z28addBiasResidualPostLayerNormIfLi2ELi32EEvPT_PKS0_S3_S3_S3_fi.num_named_barrier, 0
	.set _Z28addBiasResidualPostLayerNormIfLi2ELi32EEvPT_PKS0_S3_S3_S3_fi.private_seg_size, 0
	.set _Z28addBiasResidualPostLayerNormIfLi2ELi32EEvPT_PKS0_S3_S3_S3_fi.uses_vcc, 1
	.set _Z28addBiasResidualPostLayerNormIfLi2ELi32EEvPT_PKS0_S3_S3_S3_fi.uses_flat_scratch, 0
	.set _Z28addBiasResidualPostLayerNormIfLi2ELi32EEvPT_PKS0_S3_S3_S3_fi.has_dyn_sized_stack, 0
	.set _Z28addBiasResidualPostLayerNormIfLi2ELi32EEvPT_PKS0_S3_S3_S3_fi.has_recursion, 0
	.set _Z28addBiasResidualPostLayerNormIfLi2ELi32EEvPT_PKS0_S3_S3_S3_fi.has_indirect_call, 0
	.section	.AMDGPU.csdata,"",@progbits
; Kernel info:
; codeLenInByte = 1624
; TotalNumSgprs: 19
; NumVgprs: 16
; ScratchSize: 0
; MemoryBound: 0
; FloatMode: 240
; IeeeMode: 1
; LDSByteSize: 136 bytes/workgroup (compile time only)
; SGPRBlocks: 0
; VGPRBlocks: 0
; NumSGPRsForWavesPerEU: 19
; NumVGPRsForWavesPerEU: 16
; NamedBarCnt: 0
; Occupancy: 16
; WaveLimiterHint : 0
; COMPUTE_PGM_RSRC2:SCRATCH_EN: 0
; COMPUTE_PGM_RSRC2:USER_SGPR: 2
; COMPUTE_PGM_RSRC2:TRAP_HANDLER: 0
; COMPUTE_PGM_RSRC2:TGID_X_EN: 1
; COMPUTE_PGM_RSRC2:TGID_Y_EN: 0
; COMPUTE_PGM_RSRC2:TGID_Z_EN: 0
; COMPUTE_PGM_RSRC2:TIDIG_COMP_CNT: 0
	.section	.text._Z35generalAddBiasResidualPostLayerNormIfLi32EEvPT_PKS0_S3_S3_S3_fi,"axG",@progbits,_Z35generalAddBiasResidualPostLayerNormIfLi32EEvPT_PKS0_S3_S3_S3_fi,comdat
	.protected	_Z35generalAddBiasResidualPostLayerNormIfLi32EEvPT_PKS0_S3_S3_S3_fi ; -- Begin function _Z35generalAddBiasResidualPostLayerNormIfLi32EEvPT_PKS0_S3_S3_S3_fi
	.globl	_Z35generalAddBiasResidualPostLayerNormIfLi32EEvPT_PKS0_S3_S3_S3_fi
	.p2align	8
	.type	_Z35generalAddBiasResidualPostLayerNormIfLi32EEvPT_PKS0_S3_S3_S3_fi,@function
_Z35generalAddBiasResidualPostLayerNormIfLi32EEvPT_PKS0_S3_S3_S3_fi: ; @_Z35generalAddBiasResidualPostLayerNormIfLi32EEvPT_PKS0_S3_S3_S3_fi
; %bb.0:
	s_clause 0x1
	s_load_b64 s[10:11], s[0:1], 0x28
	s_load_b64 s[8:9], s[0:1], 0x0
	v_mov_b32_e32 v3, 0
	s_getreg_b32 s15, hwreg(HW_REG_IB_STS2, 6, 4)
	s_wait_kmcnt 0x0
	s_lshr_b32 s2, s11, 31
	s_delay_alu instid0(SALU_CYCLE_1) | instskip(NEXT) | instid1(SALU_CYCLE_1)
	s_add_co_i32 s2, s11, s2
	s_ashr_i32 s14, s2, 1
	s_delay_alu instid0(SALU_CYCLE_1)
	v_cmp_gt_i32_e64 s2, s14, v0
	s_and_saveexec_b32 s3, s2
	s_cbranch_execz .LBB7_4
; %bb.1:
	s_clause 0x1
	s_load_b128 s[4:7], s[0:1], 0x8
	s_load_b32 s12, s[0:1], 0x3c
	s_bfe_u32 s13, ttmp6, 0x4000c
	v_dual_mov_b32 v3, 0 :: v_dual_lshlrev_b32 v2, 3, v0
	s_add_co_i32 s13, s13, 1
	s_and_b32 s16, ttmp6, 15
	s_mul_i32 s13, ttmp9, s13
	v_mov_b32_e32 v1, v0
	s_add_co_i32 s16, s16, s13
	s_cmp_eq_u32 s15, 0
	s_mov_b32 s13, 0
	s_cselect_b32 s16, ttmp9, s16
	s_delay_alu instid0(SALU_CYCLE_1)
	s_mul_i32 s16, s11, s16
	s_wait_kmcnt 0x0
	v_add_nc_u64_e32 v[4:5], s[6:7], v[2:3]
	s_and_b32 s6, s12, 0xffff
	s_lshr_b32 s7, s16, 1
	s_lshl_b32 s12, s6, 3
	s_mov_b32 s16, s13
.LBB7_2:                                ; =>This Inner Loop Header: Depth=1
	v_dual_add_nc_u32 v2, s7, v1 :: v_dual_add_nc_u32 v1, s6, v1
	s_clause 0x1
	global_load_b64 v[6:7], v2, s[8:9] scale_offset
	global_load_b64 v[8:9], v2, s[4:5] scale_offset
	global_load_b64 v[10:11], v[4:5], off
	v_cmp_le_i32_e32 vcc_lo, s14, v1
	s_wait_xcnt 0x0
	v_add_nc_u64_e32 v[4:5], s[12:13], v[4:5]
	s_or_b32 s16, vcc_lo, s16
	s_wait_loadcnt 0x1
	v_pk_add_f32 v[6:7], v[6:7], v[8:9]
	s_wait_loadcnt 0x0
	s_delay_alu instid0(VALU_DEP_1) | instskip(NEXT) | instid1(VALU_DEP_1)
	v_pk_add_f32 v[6:7], v[6:7], v[10:11]
	v_add_f32_e32 v3, v3, v6
	global_store_b64 v2, v[6:7], s[8:9] scale_offset
	v_add_f32_e32 v3, v3, v7
	s_wait_xcnt 0x0
	s_and_not1_b32 exec_lo, exec_lo, s16
	s_cbranch_execnz .LBB7_2
; %bb.3:
	s_or_b32 exec_lo, exec_lo, s16
.LBB7_4:
	s_delay_alu instid0(SALU_CYCLE_1) | instskip(SKIP_2) | instid1(VALU_DEP_1)
	s_or_b32 exec_lo, exec_lo, s3
	v_mbcnt_lo_u32_b32 v2, -1, 0
	s_load_b128 s[4:7], s[0:1], 0x18
	v_xor_b32_e32 v4, 8, v2
	v_xor_b32_e32 v1, 16, v2
	s_delay_alu instid0(VALU_DEP_1) | instskip(SKIP_1) | instid1(VALU_DEP_4)
	v_cmp_gt_i32_e32 vcc_lo, 32, v1
	v_cndmask_b32_e32 v1, v2, v1, vcc_lo
	v_cmp_gt_i32_e32 vcc_lo, 32, v4
	v_cndmask_b32_e32 v4, v2, v4, vcc_lo
	s_delay_alu instid0(VALU_DEP_1)
	v_dual_lshlrev_b32 v4, 2, v4 :: v_dual_lshlrev_b32 v1, 2, v1
	ds_bpermute_b32 v5, v1, v3
	s_wait_dscnt 0x0
	v_dual_add_f32 v3, v3, v5 :: v_dual_bitop2_b32 v5, 4, v2 bitop3:0x14
	ds_bpermute_b32 v6, v4, v3
	v_cmp_gt_i32_e32 vcc_lo, 32, v5
	s_wait_dscnt 0x0
	v_dual_cndmask_b32 v5, v2, v5, vcc_lo :: v_dual_add_f32 v3, v3, v6
	s_delay_alu instid0(VALU_DEP_1)
	v_dual_lshlrev_b32 v5, 2, v5 :: v_dual_bitop2_b32 v6, 2, v2 bitop3:0x14
	ds_bpermute_b32 v7, v5, v3
	v_cmp_gt_i32_e32 vcc_lo, 32, v6
	s_wait_dscnt 0x0
	v_dual_cndmask_b32 v6, v2, v6 :: v_dual_add_f32 v3, v3, v7
	v_xor_b32_e32 v8, 1, v2
	s_delay_alu instid0(VALU_DEP_1) | instskip(NEXT) | instid1(VALU_DEP_3)
	v_cmp_gt_i32_e32 vcc_lo, 32, v8
	v_dual_lshlrev_b32 v6, 2, v6 :: v_dual_cndmask_b32 v2, v2, v8, vcc_lo
	ds_bpermute_b32 v7, v6, v3
	s_wait_dscnt 0x0
	v_dual_add_f32 v3, v3, v7 :: v_dual_lshrrev_b32 v8, 3, v0
	v_dual_lshlrev_b32 v7, 2, v2 :: v_dual_bitop2_b32 v2, 31, v0 bitop3:0x40
	ds_bpermute_b32 v9, v7, v3
	v_cmp_eq_u32_e64 s3, 0, v2
	s_and_saveexec_b32 s12, s3
	s_cbranch_execz .LBB7_6
; %bb.5:
	s_wait_dscnt 0x0
	v_add_f32_e32 v3, v3, v9
	ds_store_b32 v8, v3
.LBB7_6:
	s_or_b32 exec_lo, exec_lo, s12
	s_wait_storecnt_dscnt 0x0
	s_barrier_signal -1
	s_barrier_wait -1
	s_load_b32 s12, s[0:1], 0x3c
	v_dual_mov_b32 v3, 0 :: v_dual_lshlrev_b32 v9, 2, v2
	s_wait_kmcnt 0x0
	s_bfe_u32 s0, s12, 0xb0005
	s_delay_alu instid0(SALU_CYCLE_1)
	v_cmp_gt_u32_e64 s0, s0, v0
	s_and_saveexec_b32 s1, s0
; %bb.7:
	ds_load_b32 v3, v9
; %bb.8:
	s_or_b32 exec_lo, exec_lo, s1
	s_wait_dscnt 0x0
	ds_bpermute_b32 v2, v1, v3
	v_cmp_eq_u32_e64 s1, 0, v0
	s_cvt_f32_i32 s13, s11
	s_wait_dscnt 0x0
	v_add_f32_e32 v2, v3, v2
	ds_bpermute_b32 v3, v4, v2
	s_wait_dscnt 0x0
	v_add_f32_e32 v2, v2, v3
	ds_bpermute_b32 v3, v5, v2
	;; [unrolled: 3-line block ×4, first 2 shown]
	s_and_saveexec_b32 s16, s1
	s_cbranch_execz .LBB7_10
; %bb.9:
	s_wait_dscnt 0x0
	v_add_f32_e32 v2, v2, v3
	s_delay_alu instid0(VALU_DEP_1) | instskip(NEXT) | instid1(VALU_DEP_1)
	v_div_scale_f32 v3, null, s13, s13, v2
	v_rcp_f32_e32 v10, v3
	v_nop
	s_delay_alu instid0(TRANS32_DEP_1) | instskip(NEXT) | instid1(VALU_DEP_1)
	v_fma_f32 v11, -v3, v10, 1.0
	v_fmac_f32_e32 v10, v11, v10
	v_div_scale_f32 v12, vcc_lo, v2, s13, v2
	s_delay_alu instid0(VALU_DEP_1) | instskip(NEXT) | instid1(VALU_DEP_1)
	v_mul_f32_e32 v11, v12, v10
	v_fma_f32 v13, -v3, v11, v12
	s_delay_alu instid0(VALU_DEP_1) | instskip(NEXT) | instid1(VALU_DEP_1)
	v_fmac_f32_e32 v11, v13, v10
	v_fma_f32 v3, -v3, v11, v12
	s_delay_alu instid0(VALU_DEP_1) | instskip(NEXT) | instid1(VALU_DEP_1)
	v_div_fmas_f32 v3, v3, v10, v11
	v_div_fixup_f32 v2, v3, s13, v2
	v_mov_b32_e32 v3, 0
	ds_store_b32 v3, v2 offset:132
.LBB7_10:
	s_or_b32 exec_lo, exec_lo, s16
	s_bfe_u32 s16, ttmp6, 0x4000c
	s_and_b32 s17, ttmp6, 15
	s_add_co_i32 s16, s16, 1
	v_mov_b32_e32 v10, 0
	s_mul_i32 s16, ttmp9, s16
	s_wait_dscnt 0x0
	s_add_co_i32 s17, s17, s16
	s_cmp_eq_u32 s15, 0
	s_barrier_signal -1
	s_cselect_b32 s15, ttmp9, s17
	s_and_b32 s12, 0xffff, s12
	s_mul_i32 s11, s11, s15
	s_barrier_wait -1
	s_and_saveexec_b32 s15, s2
	s_cbranch_execz .LBB7_14
; %bb.11:
	v_dual_mov_b32 v10, 0 :: v_dual_mov_b32 v11, v0
	s_lshr_b32 s17, s11, 1
	s_mov_b32 s16, 0
	ds_load_b32 v2, v10 offset:132
	s_wait_dscnt 0x0
	v_mov_b32_e32 v3, v2
.LBB7_12:                               ; =>This Inner Loop Header: Depth=1
	v_dual_add_nc_u32 v12, s17, v11 :: v_dual_add_nc_u32 v11, s12, v11
	global_load_b64 v[12:13], v12, s[8:9] scale_offset
	v_cmp_le_i32_e32 vcc_lo, s14, v11
	s_or_b32 s16, vcc_lo, s16
	s_wait_loadcnt 0x0
	v_pk_add_f32 v[12:13], v[12:13], v[2:3] neg_lo:[0,1] neg_hi:[0,1]
	s_delay_alu instid0(VALU_DEP_1) | instskip(NEXT) | instid1(VALU_DEP_1)
	v_pk_mul_f32 v[12:13], v[12:13], v[12:13]
	v_add_f32_e32 v10, v10, v12
	s_delay_alu instid0(VALU_DEP_1)
	v_add_f32_e32 v10, v13, v10
	s_and_not1_b32 exec_lo, exec_lo, s16
	s_cbranch_execnz .LBB7_12
; %bb.13:
	s_or_b32 exec_lo, exec_lo, s16
.LBB7_14:
	s_delay_alu instid0(SALU_CYCLE_1)
	s_or_b32 exec_lo, exec_lo, s15
	ds_bpermute_b32 v2, v1, v10
	s_wait_dscnt 0x0
	v_add_f32_e32 v2, v10, v2
	ds_bpermute_b32 v3, v4, v2
	s_wait_dscnt 0x0
	v_add_f32_e32 v2, v2, v3
	;; [unrolled: 3-line block ×4, first 2 shown]
	ds_bpermute_b32 v3, v7, v2
	s_and_saveexec_b32 s15, s3
	s_cbranch_execz .LBB7_16
; %bb.15:
	s_wait_dscnt 0x0
	v_add_f32_e32 v2, v2, v3
	ds_store_b32 v8, v2
.LBB7_16:
	s_or_b32 exec_lo, exec_lo, s15
	v_mov_b32_e32 v2, 0
	s_wait_dscnt 0x0
	s_barrier_signal -1
	s_barrier_wait -1
	s_and_saveexec_b32 s3, s0
; %bb.17:
	ds_load_b32 v2, v9
; %bb.18:
	s_or_b32 exec_lo, exec_lo, s3
	s_wait_dscnt 0x0
	ds_bpermute_b32 v1, v1, v2
	s_wait_dscnt 0x0
	v_add_f32_e32 v1, v2, v1
	ds_bpermute_b32 v2, v4, v1
	s_wait_dscnt 0x0
	v_add_f32_e32 v1, v1, v2
	ds_bpermute_b32 v2, v5, v1
	s_wait_dscnt 0x0
	v_add_f32_e32 v1, v1, v2
	ds_bpermute_b32 v2, v6, v1
	s_wait_dscnt 0x0
	v_add_f32_e32 v1, v1, v2
	ds_bpermute_b32 v2, v7, v1
	s_and_saveexec_b32 s0, s1
	s_cbranch_execz .LBB7_20
; %bb.19:
	s_wait_dscnt 0x0
	v_add_f32_e32 v1, v1, v2
	s_delay_alu instid0(VALU_DEP_1) | instskip(NEXT) | instid1(VALU_DEP_1)
	v_div_scale_f32 v2, null, s13, s13, v1
	v_rcp_f32_e32 v3, v2
	v_nop
	s_delay_alu instid0(TRANS32_DEP_1) | instskip(NEXT) | instid1(VALU_DEP_1)
	v_fma_f32 v4, -v2, v3, 1.0
	v_fmac_f32_e32 v3, v4, v3
	v_div_scale_f32 v5, vcc_lo, v1, s13, v1
	s_delay_alu instid0(VALU_DEP_1) | instskip(NEXT) | instid1(VALU_DEP_1)
	v_mul_f32_e32 v4, v5, v3
	v_fma_f32 v6, -v2, v4, v5
	s_delay_alu instid0(VALU_DEP_1) | instskip(NEXT) | instid1(VALU_DEP_1)
	v_fmac_f32_e32 v4, v6, v3
	v_fma_f32 v2, -v2, v4, v5
	s_delay_alu instid0(VALU_DEP_1) | instskip(NEXT) | instid1(VALU_DEP_1)
	v_div_fmas_f32 v2, v2, v3, v4
	v_div_fixup_f32 v1, v2, s13, v1
	s_delay_alu instid0(VALU_DEP_1) | instskip(NEXT) | instid1(VALU_DEP_1)
	v_add_f32_e32 v1, s10, v1
	v_mul_f32_e32 v2, 0x4b800000, v1
	v_cmp_gt_f32_e32 vcc_lo, 0x800000, v1
	s_delay_alu instid0(VALU_DEP_2) | instskip(NEXT) | instid1(VALU_DEP_1)
	v_cndmask_b32_e32 v1, v1, v2, vcc_lo
	v_rsq_f32_e32 v1, v1
	v_nop
	s_delay_alu instid0(TRANS32_DEP_1) | instskip(NEXT) | instid1(VALU_DEP_1)
	v_mul_f32_e32 v2, 0x45800000, v1
	v_dual_cndmask_b32 v1, v1, v2 :: v_dual_mov_b32 v2, 0
	ds_store_b32 v2, v1 offset:128
.LBB7_20:
	s_or_b32 exec_lo, exec_lo, s0
	s_wait_dscnt 0x0
	s_barrier_signal -1
	s_barrier_wait -1
	s_and_saveexec_b32 s0, s2
	s_cbranch_execz .LBB7_30
; %bb.21:
	v_mov_b32_e32 v1, 0
	s_lshr_b32 s2, s11, 1
	s_mov_b32 s3, exec_lo
	ds_load_b64 v[2:3], v1 offset:128
	v_add_max_i32_e64 v1, v0, 1, s14
	s_delay_alu instid0(VALU_DEP_1) | instskip(NEXT) | instid1(VALU_DEP_1)
	v_sub_nc_u32_e32 v12, v1, v0
	v_cmp_gt_u32_e64 s1, 6, v12
	v_cmpx_lt_u32_e32 5, v12
	s_cbranch_execz .LBB7_27
; %bb.22:
	s_cvt_f32_u32 s0, s12
	v_add_nc_u32_e32 v4, s12, v0
	s_cmp_eq_u32 s12, 1
	s_cselect_b32 s11, -1, 0
	v_rcp_iflag_f32_e32 v1, s0
	s_delay_alu instid0(VALU_DEP_1) | instskip(SKIP_1) | instid1(TRANS32_DEP_1)
	v_cmp_gt_i32_e32 vcc_lo, s14, v4
	s_sub_co_i32 s10, 0, s12
	v_readfirstlane_b32 s0, v1
	v_max_i32_e32 v1, s14, v4
	v_add_co_ci_u32_e64 v4, null, s12, v0, vcc_lo
	s_mul_f32 s0, s0, 0x4f7ffffe
	v_sub_nc_u32_e32 v1, v1, v4
	s_delay_alu instid0(SALU_CYCLE_2) | instskip(NEXT) | instid1(SALU_CYCLE_3)
	s_cvt_u32_f32 s0, s0
	s_mul_i32 s10, s10, s0
	s_delay_alu instid0(SALU_CYCLE_1) | instskip(NEXT) | instid1(SALU_CYCLE_1)
	s_mul_hi_u32 s10, s0, s10
	s_add_co_i32 s0, s0, s10
	s_mov_b32 s10, 0
	v_mul_hi_u32 v4, v1, s0
	s_delay_alu instid0(VALU_DEP_1) | instskip(NEXT) | instid1(VALU_DEP_1)
	v_mul_lo_u32 v5, v4, s12
	v_dual_sub_nc_u32 v1, v1, v5 :: v_dual_add_nc_u32 v5, 1, v4
	s_delay_alu instid0(VALU_DEP_1) | instskip(SKIP_1) | instid1(VALU_DEP_1)
	v_subrev_nc_u32_e32 v6, s12, v1
	v_cmp_le_u32_e64 s0, s12, v1
	v_dual_cndmask_b32 v4, v4, v5, s0 :: v_dual_cndmask_b32 v1, v1, v6, s0
	s_delay_alu instid0(VALU_DEP_1) | instskip(NEXT) | instid1(VALU_DEP_2)
	v_add_nc_u32_e32 v5, 1, v4
	v_cmp_le_u32_e64 s0, s12, v1
	s_delay_alu instid0(VALU_DEP_1) | instskip(NEXT) | instid1(VALU_DEP_1)
	v_dual_add_nc_u32 v6, s2, v0 :: v_dual_cndmask_b32 v1, v4, v5, s0
	v_add_co_ci_u32_e64 v1, null, v6, v1, vcc_lo
	s_delay_alu instid0(VALU_DEP_1)
	v_cmp_ge_i32_e32 vcc_lo, v1, v6
	s_and_b32 s13, s11, vcc_lo
	s_mov_b32 s11, -1
	s_and_saveexec_b32 s0, s13
	s_cbranch_execz .LBB7_26
; %bb.23:
	s_wait_dscnt 0x0
	v_dual_mov_b32 v5, v3 :: v_dual_add_nc_u32 v1, 1, v0
	v_dual_mov_b32 v4, v3 :: v_dual_bitop2_b32 v13, -2, v12 bitop3:0x40
	v_dual_mov_b32 v6, v2 :: v_dual_mov_b32 v7, v2
	s_delay_alu instid0(VALU_DEP_3) | instskip(NEXT) | instid1(VALU_DEP_3)
	v_mov_b64_e32 v[10:11], v[0:1]
	v_dual_mov_b32 v9, 0 :: v_dual_mov_b32 v14, v13
	s_mov_b32 s11, s2
.LBB7_24:                               ; =>This Inner Loop Header: Depth=1
	s_delay_alu instid0(VALU_DEP_2) | instid1(SALU_CYCLE_1)
	v_dual_mov_b32 v8, v10 :: v_dual_add_nc_u32 v1, s11, v11
	v_add_nc_u32_e32 v15, s2, v10
	s_delay_alu instid0(VALU_DEP_3) | instskip(NEXT) | instid1(VALU_DEP_3)
	v_add_nc_u32_e32 v14, -2, v14
	v_lshlrev_b64_e32 v[16:17], 3, v[8:9]
	v_mov_b32_e32 v8, v11
	s_clause 0x1
	global_load_b64 v[18:19], v15, s[8:9] scale_offset
	global_load_b64 v[20:21], v1, s[8:9] scale_offset
	v_add_nc_u32_e32 v11, 2, v11
	v_cmp_eq_u32_e32 vcc_lo, 0, v14
	v_lshlrev_b64_e32 v[22:23], 3, v[8:9]
	v_add_nc_u64_e32 v[24:25], s[4:5], v[16:17]
	v_add_nc_u64_e32 v[16:17], s[6:7], v[16:17]
	s_or_b32 s10, vcc_lo, s10
	s_delay_alu instid0(VALU_DEP_3)
	v_add_nc_u64_e32 v[26:27], s[4:5], v[22:23]
	v_add_nc_u64_e32 v[22:23], s[6:7], v[22:23]
	global_load_b64 v[28:29], v[24:25], off
	global_load_b64 v[30:31], v[16:17], off
	;; [unrolled: 1-line block ×4, first 2 shown]
	s_wait_loadcnt 0x4
	s_wait_xcnt 0x2
	v_dual_mov_b32 v16, v18 :: v_dual_mov_b32 v17, v20
	v_mov_b32_e32 v20, v19
	s_delay_alu instid0(VALU_DEP_2) | instskip(NEXT) | instid1(VALU_DEP_1)
	v_pk_add_f32 v[16:17], v[16:17], v[4:5] neg_lo:[0,1] neg_hi:[0,1]
	v_pk_mul_f32 v[16:17], v[16:17], v[6:7]
	s_wait_loadcnt 0x2
	s_wait_xcnt 0x0
	v_mov_b32_e32 v22, v30
	v_pk_add_f32 v[18:19], v[20:21], v[4:5] neg_lo:[0,1] neg_hi:[0,1]
	s_wait_loadcnt 0x1
	v_dual_mov_b32 v20, v28 :: v_dual_mov_b32 v21, v32
	s_wait_loadcnt 0x0
	v_dual_mov_b32 v32, v29 :: v_dual_mov_b32 v23, v34
	v_pk_mul_f32 v[18:19], v[18:19], v[6:7]
	v_mov_b32_e32 v34, v31
	s_delay_alu instid0(VALU_DEP_3) | instskip(SKIP_1) | instid1(VALU_DEP_3)
	v_pk_fma_f32 v[16:17], v[20:21], v[16:17], v[22:23]
	v_add_nc_u32_e32 v10, 2, v10
	v_pk_fma_f32 v[18:19], v[32:33], v[18:19], v[34:35]
	s_delay_alu instid0(VALU_DEP_1) | instskip(NEXT) | instid1(VALU_DEP_4)
	v_dual_mov_b32 v20, v16 :: v_dual_mov_b32 v21, v18
	v_mov_b32_e32 v18, v17
	s_clause 0x1
	global_store_b64 v15, v[20:21], s[8:9] scale_offset
	global_store_b64 v1, v[18:19], s[8:9] scale_offset
	s_wait_xcnt 0x0
	s_and_not1_b32 exec_lo, exec_lo, s10
	s_cbranch_execnz .LBB7_24
; %bb.25:
	s_or_b32 exec_lo, exec_lo, s10
	v_cmp_ne_u32_e32 vcc_lo, v12, v13
	v_add_nc_u32_e32 v0, v0, v13
	s_or_not1_b32 s11, vcc_lo, exec_lo
.LBB7_26:
	s_or_b32 exec_lo, exec_lo, s0
	s_delay_alu instid0(SALU_CYCLE_1) | instskip(SKIP_1) | instid1(SALU_CYCLE_1)
	s_and_not1_b32 s0, s1, exec_lo
	s_and_b32 s1, s11, exec_lo
	s_or_b32 s1, s0, s1
.LBB7_27:
	s_or_b32 exec_lo, exec_lo, s3
	s_delay_alu instid0(SALU_CYCLE_1)
	s_and_b32 exec_lo, exec_lo, s1
	s_cbranch_execz .LBB7_30
; %bb.28:
	s_wait_dscnt 0x0
	v_dual_mov_b32 v1, 0 :: v_dual_mov_b32 v4, v3
	v_dual_mov_b32 v5, v3 :: v_dual_mov_b32 v3, v2
	s_mov_b32 s1, 0
	s_delay_alu instid0(VALU_DEP_2)
	v_lshlrev_b64_e32 v[6:7], 3, v[0:1]
	s_lshl_b32 s0, s12, 3
	s_mov_b32 s3, s1
.LBB7_29:                               ; =>This Inner Loop Header: Depth=1
	v_dual_add_nc_u32 v1, s2, v0 :: v_dual_add_nc_u32 v0, s12, v0
	s_delay_alu instid0(VALU_DEP_2)
	v_add_nc_u64_e32 v[10:11], s[4:5], v[6:7]
	v_add_nc_u64_e32 v[12:13], s[6:7], v[6:7]
	;; [unrolled: 1-line block ×3, first 2 shown]
	global_load_b64 v[8:9], v1, s[8:9] scale_offset
	v_cmp_le_i32_e32 vcc_lo, s14, v0
	global_load_b64 v[14:15], v[10:11], off
	global_load_b64 v[16:17], v[12:13], off
	s_or_b32 s3, vcc_lo, s3
	s_wait_loadcnt 0x2
	v_pk_add_f32 v[8:9], v[8:9], v[4:5] neg_lo:[0,1] neg_hi:[0,1]
	s_delay_alu instid0(VALU_DEP_1) | instskip(SKIP_1) | instid1(VALU_DEP_1)
	v_pk_mul_f32 v[8:9], v[8:9], v[2:3]
	s_wait_loadcnt 0x0
	v_pk_fma_f32 v[8:9], v[14:15], v[8:9], v[16:17]
	global_store_b64 v1, v[8:9], s[8:9] scale_offset
	s_wait_xcnt 0x0
	s_and_not1_b32 exec_lo, exec_lo, s3
	s_cbranch_execnz .LBB7_29
.LBB7_30:
	s_endpgm
	.section	.rodata,"a",@progbits
	.p2align	6, 0x0
	.amdhsa_kernel _Z35generalAddBiasResidualPostLayerNormIfLi32EEvPT_PKS0_S3_S3_S3_fi
		.amdhsa_group_segment_fixed_size 136
		.amdhsa_private_segment_fixed_size 0
		.amdhsa_kernarg_size 304
		.amdhsa_user_sgpr_count 2
		.amdhsa_user_sgpr_dispatch_ptr 0
		.amdhsa_user_sgpr_queue_ptr 0
		.amdhsa_user_sgpr_kernarg_segment_ptr 1
		.amdhsa_user_sgpr_dispatch_id 0
		.amdhsa_user_sgpr_kernarg_preload_length 0
		.amdhsa_user_sgpr_kernarg_preload_offset 0
		.amdhsa_user_sgpr_private_segment_size 0
		.amdhsa_wavefront_size32 1
		.amdhsa_uses_dynamic_stack 0
		.amdhsa_enable_private_segment 0
		.amdhsa_system_sgpr_workgroup_id_x 1
		.amdhsa_system_sgpr_workgroup_id_y 0
		.amdhsa_system_sgpr_workgroup_id_z 0
		.amdhsa_system_sgpr_workgroup_info 0
		.amdhsa_system_vgpr_workitem_id 0
		.amdhsa_next_free_vgpr 36
		.amdhsa_next_free_sgpr 18
		.amdhsa_named_barrier_count 0
		.amdhsa_reserve_vcc 1
		.amdhsa_float_round_mode_32 0
		.amdhsa_float_round_mode_16_64 0
		.amdhsa_float_denorm_mode_32 3
		.amdhsa_float_denorm_mode_16_64 3
		.amdhsa_fp16_overflow 0
		.amdhsa_memory_ordered 1
		.amdhsa_forward_progress 1
		.amdhsa_inst_pref_size 19
		.amdhsa_round_robin_scheduling 0
		.amdhsa_exception_fp_ieee_invalid_op 0
		.amdhsa_exception_fp_denorm_src 0
		.amdhsa_exception_fp_ieee_div_zero 0
		.amdhsa_exception_fp_ieee_overflow 0
		.amdhsa_exception_fp_ieee_underflow 0
		.amdhsa_exception_fp_ieee_inexact 0
		.amdhsa_exception_int_div_zero 0
	.end_amdhsa_kernel
	.section	.text._Z35generalAddBiasResidualPostLayerNormIfLi32EEvPT_PKS0_S3_S3_S3_fi,"axG",@progbits,_Z35generalAddBiasResidualPostLayerNormIfLi32EEvPT_PKS0_S3_S3_S3_fi,comdat
.Lfunc_end7:
	.size	_Z35generalAddBiasResidualPostLayerNormIfLi32EEvPT_PKS0_S3_S3_S3_fi, .Lfunc_end7-_Z35generalAddBiasResidualPostLayerNormIfLi32EEvPT_PKS0_S3_S3_S3_fi
                                        ; -- End function
	.set _Z35generalAddBiasResidualPostLayerNormIfLi32EEvPT_PKS0_S3_S3_S3_fi.num_vgpr, 36
	.set _Z35generalAddBiasResidualPostLayerNormIfLi32EEvPT_PKS0_S3_S3_S3_fi.num_agpr, 0
	.set _Z35generalAddBiasResidualPostLayerNormIfLi32EEvPT_PKS0_S3_S3_S3_fi.numbered_sgpr, 18
	.set _Z35generalAddBiasResidualPostLayerNormIfLi32EEvPT_PKS0_S3_S3_S3_fi.num_named_barrier, 0
	.set _Z35generalAddBiasResidualPostLayerNormIfLi32EEvPT_PKS0_S3_S3_S3_fi.private_seg_size, 0
	.set _Z35generalAddBiasResidualPostLayerNormIfLi32EEvPT_PKS0_S3_S3_S3_fi.uses_vcc, 1
	.set _Z35generalAddBiasResidualPostLayerNormIfLi32EEvPT_PKS0_S3_S3_S3_fi.uses_flat_scratch, 0
	.set _Z35generalAddBiasResidualPostLayerNormIfLi32EEvPT_PKS0_S3_S3_S3_fi.has_dyn_sized_stack, 0
	.set _Z35generalAddBiasResidualPostLayerNormIfLi32EEvPT_PKS0_S3_S3_S3_fi.has_recursion, 0
	.set _Z35generalAddBiasResidualPostLayerNormIfLi32EEvPT_PKS0_S3_S3_S3_fi.has_indirect_call, 0
	.section	.AMDGPU.csdata,"",@progbits
; Kernel info:
; codeLenInByte = 2324
; TotalNumSgprs: 20
; NumVgprs: 36
; ScratchSize: 0
; MemoryBound: 0
; FloatMode: 240
; IeeeMode: 1
; LDSByteSize: 136 bytes/workgroup (compile time only)
; SGPRBlocks: 0
; VGPRBlocks: 2
; NumSGPRsForWavesPerEU: 20
; NumVGPRsForWavesPerEU: 36
; NamedBarCnt: 0
; Occupancy: 16
; WaveLimiterHint : 0
; COMPUTE_PGM_RSRC2:SCRATCH_EN: 0
; COMPUTE_PGM_RSRC2:USER_SGPR: 2
; COMPUTE_PGM_RSRC2:TRAP_HANDLER: 0
; COMPUTE_PGM_RSRC2:TGID_X_EN: 1
; COMPUTE_PGM_RSRC2:TGID_Y_EN: 0
; COMPUTE_PGM_RSRC2:TGID_Z_EN: 0
; COMPUTE_PGM_RSRC2:TIDIG_COMP_CNT: 0
	.section	.text._Z30addBiasResidualPostLayerNormV2I6__halfLi64EEvPT_PKS1_S4_S4_S4_fi,"axG",@progbits,_Z30addBiasResidualPostLayerNormV2I6__halfLi64EEvPT_PKS1_S4_S4_S4_fi,comdat
	.protected	_Z30addBiasResidualPostLayerNormV2I6__halfLi64EEvPT_PKS1_S4_S4_S4_fi ; -- Begin function _Z30addBiasResidualPostLayerNormV2I6__halfLi64EEvPT_PKS1_S4_S4_S4_fi
	.globl	_Z30addBiasResidualPostLayerNormV2I6__halfLi64EEvPT_PKS1_S4_S4_S4_fi
	.p2align	8
	.type	_Z30addBiasResidualPostLayerNormV2I6__halfLi64EEvPT_PKS1_S4_S4_S4_fi,@function
_Z30addBiasResidualPostLayerNormV2I6__halfLi64EEvPT_PKS1_S4_S4_S4_fi: ; @_Z30addBiasResidualPostLayerNormV2I6__halfLi64EEvPT_PKS1_S4_S4_S4_fi
; %bb.0:
	s_clause 0x3
	s_load_b32 s4, s[0:1], 0x3c
	s_load_b64 s[6:7], s[0:1], 0x28
	s_load_b128 s[8:11], s[0:1], 0x0
	s_load_b64 s[2:3], s[0:1], 0x10
	s_bfe_u32 s5, ttmp6, 0x4000c
	s_and_b32 s12, ttmp6, 15
	s_add_co_i32 s5, s5, 1
	s_getreg_b32 s13, hwreg(HW_REG_IB_STS2, 6, 4)
	s_mul_i32 s5, ttmp9, s5
	v_dual_mov_b32 v3, 0 :: v_dual_lshlrev_b32 v2, 2, v0
	s_add_co_i32 s12, s12, s5
	s_wait_kmcnt 0x0
	s_and_b32 s14, s4, 0xffff
	s_cmp_eq_u32 s13, 0
	v_add_nc_u64_e32 v[6:7], s[2:3], v[2:3]
	s_cselect_b32 s4, ttmp9, s12
	s_delay_alu instid0(SALU_CYCLE_1) | instskip(NEXT) | instid1(SALU_CYCLE_1)
	s_mul_i32 s4, s7, s4
	s_lshr_b32 s5, s4, 31
	s_delay_alu instid0(SALU_CYCLE_1) | instskip(SKIP_2) | instid1(SALU_CYCLE_1)
	s_add_co_i32 s4, s4, s5
	s_mov_b32 s5, 0
	s_ashr_i32 s4, s4, 1
	v_add_nc_u32_e32 v4, s4, v0
	s_lshl_b32 s4, s14, 2
	s_delay_alu instid0(SALU_CYCLE_1) | instskip(NEXT) | instid1(VALU_DEP_2)
	v_add_nc_u64_e32 v[6:7], s[4:5], v[6:7]
	v_add_nc_u32_e32 v1, s14, v4
	s_delay_alu instid0(VALU_DEP_2) | instskip(NEXT) | instid1(VALU_DEP_2)
	v_add_nc_u64_e32 v[8:9], s[4:5], v[6:7]
	v_add_nc_u32_e32 v12, s14, v1
	s_clause 0x1
	global_load_b32 v5, v4, s[8:9] scale_offset
	global_load_b32 v10, v4, s[10:11] scale_offset
	;; [unrolled: 1-line block ×3, first 2 shown]
	s_clause 0x1
	global_load_b32 v13, v1, s[8:9] scale_offset
	global_load_b32 v14, v1, s[10:11] scale_offset
	global_load_b32 v1, v[6:7], off
	s_clause 0x1
	global_load_b32 v15, v12, s[8:9] scale_offset
	global_load_b32 v16, v12, s[10:11] scale_offset
	s_wait_xcnt 0x0
	v_add_nc_u32_e32 v12, s14, v12
	v_add_nc_u64_e32 v[6:7], s[4:5], v[8:9]
	global_load_b32 v17, v[8:9], off
	s_add_nc_u64 s[4:5], s[0:1], 48
	s_clause 0x1
	global_load_b32 v9, v12, s[8:9] scale_offset
	global_load_b32 v18, v12, s[10:11] scale_offset
	global_load_b32 v19, v[6:7], off
	s_wait_loadcnt 0xa
	v_pk_add_f16 v5, v5, v10
	s_wait_loadcnt 0x9
	s_delay_alu instid0(VALU_DEP_1)
	v_pk_add_f16 v8, v5, v11
	s_wait_loadcnt 0x7
	v_pk_add_f16 v5, v13, v14
	v_mbcnt_lo_u32_b32 v13, -1, 0
	s_wait_xcnt 0x0
	v_pk_add_f16 v6, v8, 0
	s_wait_loadcnt 0x6
	v_pk_add_f16 v10, v5, v1
	s_wait_loadcnt 0x4
	v_pk_add_f16 v1, v15, v16
	v_xor_b32_e32 v16, 1, v13
	s_delay_alu instid0(VALU_DEP_3) | instskip(SKIP_1) | instid1(VALU_DEP_3)
	v_pk_add_f16 v5, v6, v10
	s_wait_loadcnt 0x3
	v_pk_add_f16 v12, v1, v17
	s_wait_loadcnt 0x1
	v_pk_add_f16 v1, v9, v18
	s_delay_alu instid0(VALU_DEP_2) | instskip(SKIP_1) | instid1(VALU_DEP_2)
	v_pk_add_f16 v6, v5, v12
	s_wait_loadcnt 0x0
	v_pk_add_f16 v5, v1, v19
	s_delay_alu instid0(VALU_DEP_1) | instskip(SKIP_1) | instid1(VALU_DEP_2)
	v_pk_add_f16 v1, v6, v5
	v_or_b32_e32 v6, 32, v13
	v_lshrrev_b32_e32 v7, 16, v1
	s_delay_alu instid0(VALU_DEP_2) | instskip(NEXT) | instid1(VALU_DEP_2)
	v_cmp_gt_i32_e32 vcc_lo, 64, v6
	v_add_f16_e32 v7, v1, v7
	s_delay_alu instid0(VALU_DEP_1) | instskip(SKIP_1) | instid1(VALU_DEP_1)
	v_cvt_f32_f16_e32 v7, v7
	v_cndmask_b32_e32 v6, v13, v6, vcc_lo
	v_dual_lshlrev_b32 v1, 2, v6 :: v_dual_bitop2_b32 v6, 16, v13 bitop3:0x14
	ds_bpermute_b32 v9, v1, v7
	v_cmp_gt_i32_e32 vcc_lo, 64, v6
	s_wait_dscnt 0x0
	v_dual_cndmask_b32 v6, v13, v6 :: v_dual_add_f32 v9, v7, v9
	v_xor_b32_e32 v7, 8, v13
	s_delay_alu instid0(VALU_DEP_1) | instskip(NEXT) | instid1(VALU_DEP_3)
	v_cmp_gt_i32_e32 vcc_lo, 64, v7
	v_dual_cndmask_b32 v7, v13, v7 :: v_dual_lshlrev_b32 v6, 2, v6
	ds_bpermute_b32 v11, v6, v9
	v_lshlrev_b32_e32 v7, 2, v7
	s_wait_dscnt 0x0
	v_dual_add_f32 v11, v9, v11 :: v_dual_bitop2_b32 v9, 4, v13 bitop3:0x14
	s_delay_alu instid0(VALU_DEP_1) | instskip(SKIP_1) | instid1(VALU_DEP_1)
	v_cmp_gt_i32_e32 vcc_lo, 64, v9
	v_cndmask_b32_e32 v9, v13, v9, vcc_lo
	v_lshlrev_b32_e32 v9, 2, v9
	ds_bpermute_b32 v14, v7, v11
	s_wait_dscnt 0x0
	v_add_f32_e32 v14, v11, v14
	ds_bpermute_b32 v15, v9, v14
	s_wait_dscnt 0x0
	v_dual_add_f32 v14, v14, v15 :: v_dual_bitop2_b32 v11, 2, v13 bitop3:0x14
	s_delay_alu instid0(VALU_DEP_1) | instskip(SKIP_2) | instid1(VALU_DEP_2)
	v_cmp_gt_i32_e32 vcc_lo, 64, v11
	v_cndmask_b32_e32 v11, v13, v11, vcc_lo
	v_cmp_gt_i32_e32 vcc_lo, 64, v16
	v_dual_lshlrev_b32 v11, 2, v11 :: v_dual_cndmask_b32 v13, v13, v16, vcc_lo
	ds_bpermute_b32 v15, v11, v14
	s_wait_dscnt 0x0
	v_dual_add_f32 v16, v14, v15 :: v_dual_lshlrev_b32 v13, 2, v13
	v_dual_lshrrev_b32 v15, 4, v0 :: v_dual_bitop2_b32 v14, 63, v0 bitop3:0x40
	ds_bpermute_b32 v17, v13, v16
	v_cmp_eq_u32_e64 s2, 0, v14
	s_and_saveexec_b32 s3, s2
	s_cbranch_execz .LBB8_2
; %bb.1:
	s_wait_dscnt 0x0
	v_add_f32_e32 v16, v16, v17
	ds_store_b32 v15, v16
.LBB8_2:
	s_or_b32 exec_lo, exec_lo, s3
	s_wait_dscnt 0x0
	s_barrier_signal -1
	s_barrier_wait -1
	s_load_b32 s5, s[4:5], 0xc
	v_lshlrev_b32_e32 v16, 2, v14
	s_wait_kmcnt 0x0
	s_bfe_u32 s3, s5, 0xa0006
	s_delay_alu instid0(SALU_CYCLE_1)
	v_cmp_gt_u32_e64 s3, s3, v0
	s_and_saveexec_b32 s4, s3
; %bb.3:
	ds_load_b32 v3, v16
; %bb.4:
	s_or_b32 exec_lo, exec_lo, s4
	s_wait_dscnt 0x0
	ds_bpermute_b32 v14, v1, v3
	v_cmp_eq_u32_e64 s4, 0, v0
	s_cvt_f32_i32 s7, s7
	s_wait_dscnt 0x0
	v_add_f32_e32 v3, v3, v14
	ds_bpermute_b32 v14, v6, v3
	s_wait_dscnt 0x0
	v_add_f32_e32 v3, v3, v14
	ds_bpermute_b32 v14, v7, v3
	;; [unrolled: 3-line block ×5, first 2 shown]
	s_and_saveexec_b32 s10, s4
	s_cbranch_execz .LBB8_6
; %bb.5:
	s_wait_dscnt 0x0
	v_add_f32_e32 v3, v3, v14
	s_delay_alu instid0(VALU_DEP_1) | instskip(NEXT) | instid1(VALU_DEP_1)
	v_div_scale_f32 v14, null, s7, s7, v3
	v_rcp_f32_e32 v17, v14
	v_nop
	s_delay_alu instid0(TRANS32_DEP_1) | instskip(NEXT) | instid1(VALU_DEP_1)
	v_fma_f32 v18, -v14, v17, 1.0
	v_fmac_f32_e32 v17, v18, v17
	v_div_scale_f32 v19, vcc_lo, v3, s7, v3
	s_delay_alu instid0(VALU_DEP_1) | instskip(NEXT) | instid1(VALU_DEP_1)
	v_mul_f32_e32 v18, v19, v17
	v_fma_f32 v20, -v14, v18, v19
	s_delay_alu instid0(VALU_DEP_1) | instskip(NEXT) | instid1(VALU_DEP_1)
	v_fmac_f32_e32 v18, v20, v17
	v_fma_f32 v14, -v14, v18, v19
	s_delay_alu instid0(VALU_DEP_1) | instskip(NEXT) | instid1(VALU_DEP_1)
	v_div_fmas_f32 v14, v14, v17, v18
	v_div_fixup_f32 v3, v14, s7, v3
	v_mov_b32_e32 v14, 0
	ds_store_b32 v14, v3 offset:68
.LBB8_6:
	s_or_b32 exec_lo, exec_lo, s10
	v_mov_b32_e32 v3, 0
	s_wait_dscnt 0x0
	s_barrier_signal -1
	s_barrier_wait -1
	ds_load_b32 v14, v3 offset:68
	s_wait_dscnt 0x0
	v_cvt_f16_f32_e32 v14, v14
	s_delay_alu instid0(VALU_DEP_1) | instskip(SKIP_3) | instid1(VALU_DEP_3)
	v_pk_add_f16 v8, v8, v14 op_sel_hi:[1,0] neg_lo:[0,1] neg_hi:[0,1]
	v_pk_add_f16 v10, v10, v14 op_sel_hi:[1,0] neg_lo:[0,1] neg_hi:[0,1]
	v_pk_add_f16 v12, v12, v14 op_sel_hi:[1,0] neg_lo:[0,1] neg_hi:[0,1]
	v_pk_add_f16 v14, v5, v14 op_sel_hi:[1,0] neg_lo:[0,1] neg_hi:[0,1]
	v_dual_lshrrev_b32 v17, 16, v8 :: v_dual_lshrrev_b32 v18, 16, v10
	s_delay_alu instid0(VALU_DEP_3) | instskip(NEXT) | instid1(VALU_DEP_2)
	v_lshrrev_b32_e32 v19, 16, v12
	v_cvt_f32_f16_e32 v17, v17
	s_delay_alu instid0(VALU_DEP_3) | instskip(NEXT) | instid1(VALU_DEP_3)
	v_cvt_f32_f16_e32 v18, v18
	v_cvt_f32_f16_e32 v5, v19
	s_delay_alu instid0(VALU_DEP_3) | instskip(NEXT) | instid1(VALU_DEP_2)
	v_dual_lshrrev_b32 v19, 16, v14 :: v_dual_mul_f32 v17, v17, v17
	v_dual_mul_f32 v18, v18, v18 :: v_dual_mul_f32 v5, v5, v5
	s_delay_alu instid0(VALU_DEP_2) | instskip(NEXT) | instid1(VALU_DEP_3)
	v_cvt_f32_f16_e32 v19, v19
	v_fma_mix_f32 v17, v8, v8, v17 op_sel_hi:[1,1,0]
	s_delay_alu instid0(VALU_DEP_3) | instskip(NEXT) | instid1(VALU_DEP_4)
	v_fma_mix_f32 v18, v10, v10, v18 op_sel_hi:[1,1,0]
	v_fma_mix_f32 v5, v12, v12, v5 op_sel_hi:[1,1,0]
	s_delay_alu instid0(VALU_DEP_2) | instskip(NEXT) | instid1(VALU_DEP_1)
	v_dual_add_f32 v17, v17, v18 :: v_dual_mul_f32 v18, v19, v19
	v_add_f32_e32 v5, v17, v5
	s_delay_alu instid0(VALU_DEP_2) | instskip(NEXT) | instid1(VALU_DEP_1)
	v_fma_mix_f32 v17, v14, v14, v18 op_sel_hi:[1,1,0]
	v_add_f32_e32 v5, v5, v17
	ds_bpermute_b32 v17, v1, v5
	s_wait_dscnt 0x0
	v_add_f32_e32 v5, v5, v17
	ds_bpermute_b32 v17, v6, v5
	s_wait_dscnt 0x0
	;; [unrolled: 3-line block ×5, first 2 shown]
	v_dual_add_f32 v17, v5, v17 :: v_dual_ashrrev_i32 v5, 31, v4
	ds_bpermute_b32 v18, v13, v17
	s_and_saveexec_b32 s10, s2
	s_cbranch_execz .LBB8_8
; %bb.7:
	s_wait_dscnt 0x0
	v_add_f32_e32 v17, v17, v18
	ds_store_b32 v15, v17
.LBB8_8:
	s_or_b32 exec_lo, exec_lo, s10
	s_load_b128 s[12:15], s[0:1], 0x18
	s_wait_dscnt 0x0
	s_barrier_signal -1
	s_barrier_wait -1
	s_wait_xcnt 0x0
	s_and_saveexec_b32 s0, s3
; %bb.9:
	ds_load_b32 v3, v16
; %bb.10:
	s_or_b32 exec_lo, exec_lo, s0
	s_wait_dscnt 0x0
	ds_bpermute_b32 v1, v1, v3
	s_wait_dscnt 0x0
	v_add_f32_e32 v1, v3, v1
	ds_bpermute_b32 v3, v6, v1
	s_wait_dscnt 0x0
	v_add_f32_e32 v1, v1, v3
	ds_bpermute_b32 v3, v7, v1
	v_lshl_add_u64 v[6:7], v[4:5], 2, s[8:9]
	s_wait_dscnt 0x0
	v_add_f32_e32 v1, v1, v3
	ds_bpermute_b32 v3, v9, v1
	s_wait_dscnt 0x0
	v_add_f32_e32 v1, v1, v3
	ds_bpermute_b32 v3, v11, v1
	;; [unrolled: 3-line block ×3, first 2 shown]
	s_and_saveexec_b32 s0, s4
	s_cbranch_execz .LBB8_12
; %bb.11:
	s_wait_dscnt 0x0
	v_add_f32_e32 v1, v1, v3
	s_delay_alu instid0(VALU_DEP_1) | instskip(SKIP_1) | instid1(VALU_DEP_2)
	v_div_scale_f32 v3, null, s7, s7, v1
	v_div_scale_f32 v11, vcc_lo, v1, s7, v1
	v_rcp_f32_e32 v5, v3
	v_nop
	s_delay_alu instid0(TRANS32_DEP_1) | instskip(NEXT) | instid1(VALU_DEP_1)
	v_fma_f32 v9, -v3, v5, 1.0
	v_fmac_f32_e32 v5, v9, v5
	s_delay_alu instid0(VALU_DEP_1) | instskip(NEXT) | instid1(VALU_DEP_1)
	v_mul_f32_e32 v9, v11, v5
	v_fma_f32 v13, -v3, v9, v11
	s_delay_alu instid0(VALU_DEP_1) | instskip(NEXT) | instid1(VALU_DEP_1)
	v_fmac_f32_e32 v9, v13, v5
	v_fma_f32 v3, -v3, v9, v11
	s_delay_alu instid0(VALU_DEP_1) | instskip(NEXT) | instid1(VALU_DEP_1)
	v_div_fmas_f32 v3, v3, v5, v9
	v_div_fixup_f32 v1, v3, s7, v1
	s_delay_alu instid0(VALU_DEP_1) | instskip(NEXT) | instid1(VALU_DEP_1)
	v_add_f32_e32 v1, s6, v1
	v_mul_f32_e32 v3, 0x4b800000, v1
	v_cmp_gt_f32_e32 vcc_lo, 0x800000, v1
	s_delay_alu instid0(VALU_DEP_2) | instskip(NEXT) | instid1(VALU_DEP_1)
	v_cndmask_b32_e32 v1, v1, v3, vcc_lo
	v_rsq_f32_e32 v1, v1
	v_nop
	s_delay_alu instid0(TRANS32_DEP_1) | instskip(NEXT) | instid1(VALU_DEP_1)
	v_mul_f32_e32 v3, 0x45800000, v1
	v_dual_cndmask_b32 v1, v1, v3, vcc_lo :: v_dual_mov_b32 v3, 0
	ds_store_b32 v3, v1 offset:64
.LBB8_12:
	s_or_b32 exec_lo, exec_lo, s0
	s_and_b32 s2, 0xffff, s5
	s_wait_dscnt 0x0
	v_mov_b32_e32 v3, 0
	s_mov_b32 s1, 0
	s_lshl_b32 s0, s2, 2
	s_barrier_signal -1
	s_wait_kmcnt 0x0
	v_add_nc_u64_e32 v[16:17], s[12:13], v[2:3]
	v_add_nc_u64_e32 v[18:19], s[14:15], v[2:3]
	s_barrier_wait -1
	s_delay_alu instid0(VALU_DEP_2) | instskip(NEXT) | instid1(VALU_DEP_2)
	v_add_nc_u64_e32 v[16:17], s[0:1], v[16:17]
	v_add_nc_u64_e32 v[18:19], s[0:1], v[18:19]
	s_delay_alu instid0(VALU_DEP_2) | instskip(NEXT) | instid1(VALU_DEP_2)
	v_add_nc_u64_e32 v[20:21], s[0:1], v[16:17]
	v_add_nc_u64_e32 v[22:23], s[0:1], v[18:19]
	;; [unrolled: 3-line block ×3, first 2 shown]
	s_clause 0x1
	global_load_b32 v1, v0, s[12:13] scale_offset
	global_load_b32 v2, v0, s[14:15] scale_offset
	global_load_b32 v5, v[16:17], off
	global_load_b32 v9, v[18:19], off
	;; [unrolled: 1-line block ×6, first 2 shown]
	s_wait_xcnt 0x6
	ds_load_b32 v0, v3 offset:64
	v_add_nc_u32_e32 v3, s2, v4
	s_wait_dscnt 0x0
	v_cvt_f16_f32_e32 v0, v0
	s_delay_alu instid0(VALU_DEP_1)
	v_pk_mul_f16 v4, v0, v8 op_sel_hi:[0,1]
	v_pk_mul_f16 v8, v0, v10 op_sel_hi:[0,1]
	;; [unrolled: 1-line block ×3, first 2 shown]
	v_add_nc_u32_e32 v12, s2, v3
	v_pk_mul_f16 v0, v0, v14 op_sel_hi:[0,1]
	s_wait_loadcnt 0x6
	v_pk_fma_f16 v1, v4, v1, v2
	s_wait_loadcnt 0x4
	v_pk_fma_f16 v2, v8, v5, v9
	v_add_nc_u32_e32 v5, s2, v12
	s_wait_loadcnt 0x2
	v_pk_fma_f16 v4, v10, v11, v13
	s_wait_loadcnt 0x0
	v_pk_fma_f16 v0, v0, v15, v28
	s_clause 0x3
	global_store_b32 v[6:7], v1, off
	global_store_b32 v3, v2, s[8:9] scale_offset
	global_store_b32 v12, v4, s[8:9] scale_offset
	;; [unrolled: 1-line block ×3, first 2 shown]
	s_endpgm
	.section	.rodata,"a",@progbits
	.p2align	6, 0x0
	.amdhsa_kernel _Z30addBiasResidualPostLayerNormV2I6__halfLi64EEvPT_PKS1_S4_S4_S4_fi
		.amdhsa_group_segment_fixed_size 72
		.amdhsa_private_segment_fixed_size 0
		.amdhsa_kernarg_size 304
		.amdhsa_user_sgpr_count 2
		.amdhsa_user_sgpr_dispatch_ptr 0
		.amdhsa_user_sgpr_queue_ptr 0
		.amdhsa_user_sgpr_kernarg_segment_ptr 1
		.amdhsa_user_sgpr_dispatch_id 0
		.amdhsa_user_sgpr_kernarg_preload_length 0
		.amdhsa_user_sgpr_kernarg_preload_offset 0
		.amdhsa_user_sgpr_private_segment_size 0
		.amdhsa_wavefront_size32 1
		.amdhsa_uses_dynamic_stack 0
		.amdhsa_enable_private_segment 0
		.amdhsa_system_sgpr_workgroup_id_x 1
		.amdhsa_system_sgpr_workgroup_id_y 0
		.amdhsa_system_sgpr_workgroup_id_z 0
		.amdhsa_system_sgpr_workgroup_info 0
		.amdhsa_system_vgpr_workitem_id 0
		.amdhsa_next_free_vgpr 29
		.amdhsa_next_free_sgpr 16
		.amdhsa_named_barrier_count 0
		.amdhsa_reserve_vcc 1
		.amdhsa_float_round_mode_32 0
		.amdhsa_float_round_mode_16_64 0
		.amdhsa_float_denorm_mode_32 3
		.amdhsa_float_denorm_mode_16_64 3
		.amdhsa_fp16_overflow 0
		.amdhsa_memory_ordered 1
		.amdhsa_forward_progress 1
		.amdhsa_inst_pref_size 17
		.amdhsa_round_robin_scheduling 0
		.amdhsa_exception_fp_ieee_invalid_op 0
		.amdhsa_exception_fp_denorm_src 0
		.amdhsa_exception_fp_ieee_div_zero 0
		.amdhsa_exception_fp_ieee_overflow 0
		.amdhsa_exception_fp_ieee_underflow 0
		.amdhsa_exception_fp_ieee_inexact 0
		.amdhsa_exception_int_div_zero 0
	.end_amdhsa_kernel
	.section	.text._Z30addBiasResidualPostLayerNormV2I6__halfLi64EEvPT_PKS1_S4_S4_S4_fi,"axG",@progbits,_Z30addBiasResidualPostLayerNormV2I6__halfLi64EEvPT_PKS1_S4_S4_S4_fi,comdat
.Lfunc_end8:
	.size	_Z30addBiasResidualPostLayerNormV2I6__halfLi64EEvPT_PKS1_S4_S4_S4_fi, .Lfunc_end8-_Z30addBiasResidualPostLayerNormV2I6__halfLi64EEvPT_PKS1_S4_S4_S4_fi
                                        ; -- End function
	.set _Z30addBiasResidualPostLayerNormV2I6__halfLi64EEvPT_PKS1_S4_S4_S4_fi.num_vgpr, 29
	.set _Z30addBiasResidualPostLayerNormV2I6__halfLi64EEvPT_PKS1_S4_S4_S4_fi.num_agpr, 0
	.set _Z30addBiasResidualPostLayerNormV2I6__halfLi64EEvPT_PKS1_S4_S4_S4_fi.numbered_sgpr, 16
	.set _Z30addBiasResidualPostLayerNormV2I6__halfLi64EEvPT_PKS1_S4_S4_S4_fi.num_named_barrier, 0
	.set _Z30addBiasResidualPostLayerNormV2I6__halfLi64EEvPT_PKS1_S4_S4_S4_fi.private_seg_size, 0
	.set _Z30addBiasResidualPostLayerNormV2I6__halfLi64EEvPT_PKS1_S4_S4_S4_fi.uses_vcc, 1
	.set _Z30addBiasResidualPostLayerNormV2I6__halfLi64EEvPT_PKS1_S4_S4_S4_fi.uses_flat_scratch, 0
	.set _Z30addBiasResidualPostLayerNormV2I6__halfLi64EEvPT_PKS1_S4_S4_S4_fi.has_dyn_sized_stack, 0
	.set _Z30addBiasResidualPostLayerNormV2I6__halfLi64EEvPT_PKS1_S4_S4_S4_fi.has_recursion, 0
	.set _Z30addBiasResidualPostLayerNormV2I6__halfLi64EEvPT_PKS1_S4_S4_S4_fi.has_indirect_call, 0
	.section	.AMDGPU.csdata,"",@progbits
; Kernel info:
; codeLenInByte = 2064
; TotalNumSgprs: 18
; NumVgprs: 29
; ScratchSize: 0
; MemoryBound: 0
; FloatMode: 240
; IeeeMode: 1
; LDSByteSize: 72 bytes/workgroup (compile time only)
; SGPRBlocks: 0
; VGPRBlocks: 1
; NumSGPRsForWavesPerEU: 18
; NumVGPRsForWavesPerEU: 29
; NamedBarCnt: 0
; Occupancy: 16
; WaveLimiterHint : 0
; COMPUTE_PGM_RSRC2:SCRATCH_EN: 0
; COMPUTE_PGM_RSRC2:USER_SGPR: 2
; COMPUTE_PGM_RSRC2:TRAP_HANDLER: 0
; COMPUTE_PGM_RSRC2:TGID_X_EN: 1
; COMPUTE_PGM_RSRC2:TGID_Y_EN: 0
; COMPUTE_PGM_RSRC2:TGID_Z_EN: 0
; COMPUTE_PGM_RSRC2:TIDIG_COMP_CNT: 0
	.section	.text._Z30addBiasResidualPostLayerNormV2I6__halfLi32EEvPT_PKS1_S4_S4_S4_fi,"axG",@progbits,_Z30addBiasResidualPostLayerNormV2I6__halfLi32EEvPT_PKS1_S4_S4_S4_fi,comdat
	.protected	_Z30addBiasResidualPostLayerNormV2I6__halfLi32EEvPT_PKS1_S4_S4_S4_fi ; -- Begin function _Z30addBiasResidualPostLayerNormV2I6__halfLi32EEvPT_PKS1_S4_S4_S4_fi
	.globl	_Z30addBiasResidualPostLayerNormV2I6__halfLi32EEvPT_PKS1_S4_S4_S4_fi
	.p2align	8
	.type	_Z30addBiasResidualPostLayerNormV2I6__halfLi32EEvPT_PKS1_S4_S4_S4_fi,@function
_Z30addBiasResidualPostLayerNormV2I6__halfLi32EEvPT_PKS1_S4_S4_S4_fi: ; @_Z30addBiasResidualPostLayerNormV2I6__halfLi32EEvPT_PKS1_S4_S4_S4_fi
; %bb.0:
	s_clause 0x3
	s_load_b32 s2, s[0:1], 0x3c
	s_load_b64 s[14:15], s[0:1], 0x28
	s_load_b128 s[8:11], s[0:1], 0x0
	s_load_b64 s[4:5], s[0:1], 0x10
	s_bfe_u32 s3, ttmp6, 0x4000c
	s_and_b32 s6, ttmp6, 15
	s_add_co_i32 s3, s3, 1
	s_getreg_b32 s7, hwreg(HW_REG_IB_STS2, 6, 4)
	s_mul_i32 s3, ttmp9, s3
	v_dual_mov_b32 v3, 0 :: v_dual_lshlrev_b32 v2, 2, v0
	s_add_co_i32 s6, s6, s3
	s_mov_b32 s13, 0
	s_wait_kmcnt 0x0
	s_and_b32 s2, s2, 0xffff
	s_cmp_eq_u32 s7, 0
	v_add_nc_u64_e32 v[8:9], s[4:5], v[2:3]
	s_cselect_b32 s3, ttmp9, s6
	s_lshl_b32 s12, s2, 2
	s_mul_i32 s3, s15, s3
	s_delay_alu instid0(SALU_CYCLE_1) | instskip(NEXT) | instid1(VALU_DEP_1)
	s_lshr_b32 s6, s3, 31
	v_add_nc_u64_e32 v[10:11], s[12:13], v[8:9]
	s_add_co_i32 s3, s3, s6
	s_delay_alu instid0(SALU_CYCLE_1) | instskip(NEXT) | instid1(SALU_CYCLE_1)
	s_ashr_i32 s3, s3, 1
	v_add_nc_u32_e32 v4, s3, v0
	s_delay_alu instid0(VALU_DEP_2) | instskip(NEXT) | instid1(VALU_DEP_2)
	v_add_nc_u64_e32 v[12:13], s[12:13], v[10:11]
	v_add_nc_u32_e32 v6, s2, v4
	s_delay_alu instid0(VALU_DEP_1)
	v_add_nc_u32_e32 v8, s2, v6
	s_clause 0x1
	global_load_b32 v1, v4, s[8:9] scale_offset
	global_load_b32 v5, v4, s[10:11] scale_offset
	;; [unrolled: 1-line block ×3, first 2 shown]
	s_clause 0x1
	global_load_b32 v9, v6, s[8:9] scale_offset
	global_load_b32 v14, v6, s[10:11] scale_offset
	global_load_b32 v15, v[10:11], off
	s_clause 0x1
	global_load_b32 v16, v8, s[8:9] scale_offset
	global_load_b32 v17, v8, s[10:11] scale_offset
	s_wait_xcnt 0x2
	v_add_nc_u32_e32 v10, s2, v8
	global_load_b32 v18, v[12:13], off
	s_wait_xcnt 0x0
	v_add_nc_u64_e32 v[12:13], s[12:13], v[12:13]
	s_clause 0x1
	global_load_b32 v19, v10, s[8:9] scale_offset
	global_load_b32 v20, v10, s[10:11] scale_offset
	global_load_b32 v21, v[12:13], off
	s_wait_loadcnt 0xa
	v_pk_add_f16 v1, v1, v5
	s_wait_loadcnt 0x9
	s_delay_alu instid0(VALU_DEP_1) | instskip(SKIP_3) | instid1(VALU_DEP_3)
	v_pk_add_f16 v11, v1, v7
	s_wait_loadcnt 0x7
	v_pk_add_f16 v1, v9, v14
	v_mbcnt_lo_u32_b32 v14, -1, 0
	v_pk_add_f16 v5, v11, 0
	s_wait_loadcnt 0x6
	s_delay_alu instid0(VALU_DEP_3) | instskip(SKIP_2) | instid1(VALU_DEP_2)
	v_pk_add_f16 v9, v1, v15
	s_wait_loadcnt 0x4
	v_pk_add_f16 v1, v16, v17
	v_pk_add_f16 v5, v5, v9
	s_wait_loadcnt 0x3
	s_delay_alu instid0(VALU_DEP_2)
	v_pk_add_f16 v7, v1, v18
	s_wait_loadcnt 0x1
	v_pk_add_f16 v1, v19, v20
	v_xor_b32_e32 v18, 1, v14
	s_wait_xcnt 0x0
	v_pk_add_f16 v12, v5, v7
	s_wait_loadcnt 0x0
	v_pk_add_f16 v5, v1, v21
	v_lshrrev_b32_e32 v21, 3, v0
	s_delay_alu instid0(VALU_DEP_2) | instskip(NEXT) | instid1(VALU_DEP_1)
	v_pk_add_f16 v1, v12, v5
	v_dual_lshrrev_b32 v13, 16, v1 :: v_dual_bitop2_b32 v12, 16, v14 bitop3:0x14
	s_delay_alu instid0(VALU_DEP_1) | instskip(NEXT) | instid1(VALU_DEP_2)
	v_cmp_gt_i32_e32 vcc_lo, 32, v12
	v_add_f16_e32 v13, v1, v13
	s_delay_alu instid0(VALU_DEP_1) | instskip(SKIP_1) | instid1(VALU_DEP_1)
	v_cvt_f32_f16_e32 v13, v13
	v_cndmask_b32_e32 v12, v14, v12, vcc_lo
	v_dual_lshlrev_b32 v1, 2, v12 :: v_dual_bitop2_b32 v12, 8, v14 bitop3:0x14
	ds_bpermute_b32 v15, v1, v13
	v_cmp_gt_i32_e32 vcc_lo, 32, v12
	s_wait_dscnt 0x0
	v_dual_cndmask_b32 v12, v14, v12 :: v_dual_add_f32 v15, v13, v15
	v_xor_b32_e32 v13, 4, v14
	s_delay_alu instid0(VALU_DEP_1) | instskip(NEXT) | instid1(VALU_DEP_3)
	v_cmp_gt_i32_e32 vcc_lo, 32, v13
	v_dual_cndmask_b32 v13, v14, v13 :: v_dual_lshlrev_b32 v12, 2, v12
	ds_bpermute_b32 v16, v12, v15
	s_wait_dscnt 0x0
	v_dual_add_f32 v16, v15, v16 :: v_dual_lshlrev_b32 v13, 2, v13
	ds_bpermute_b32 v17, v13, v16
	s_wait_dscnt 0x0
	v_dual_add_f32 v16, v16, v17 :: v_dual_bitop2_b32 v15, 2, v14 bitop3:0x14
	s_delay_alu instid0(VALU_DEP_1) | instskip(SKIP_2) | instid1(VALU_DEP_2)
	v_cmp_gt_i32_e32 vcc_lo, 32, v15
	v_cndmask_b32_e32 v15, v14, v15, vcc_lo
	v_cmp_gt_i32_e32 vcc_lo, 32, v18
	v_dual_cndmask_b32 v14, v14, v18 :: v_dual_lshlrev_b32 v15, 2, v15
	ds_bpermute_b32 v17, v15, v16
	s_wait_dscnt 0x0
	v_dual_add_f32 v16, v16, v17 :: v_dual_lshlrev_b32 v17, 2, v14
	v_and_b32_e32 v14, 31, v0
	ds_bpermute_b32 v18, v17, v16
	v_cmp_eq_u32_e64 s4, 0, v14
	s_and_saveexec_b32 s3, s4
	s_cbranch_execz .LBB9_2
; %bb.1:
	s_wait_dscnt 0x0
	v_add_f32_e32 v16, v16, v18
	ds_store_b32 v21, v16
.LBB9_2:
	s_or_b32 exec_lo, exec_lo, s3
	s_lshr_b32 s2, s2, 5
	v_lshlrev_b32_e32 v20, 2, v14
	v_cmp_gt_u32_e64 s3, s2, v0
	s_wait_dscnt 0x0
	s_barrier_signal -1
	s_barrier_wait -1
	s_and_saveexec_b32 s2, s3
; %bb.3:
	ds_load_b32 v3, v20
; %bb.4:
	s_or_b32 exec_lo, exec_lo, s2
	s_wait_dscnt 0x0
	ds_bpermute_b32 v14, v1, v3
	v_cmp_eq_u32_e64 s2, 0, v0
	s_cvt_f32_i32 s10, s15
	s_wait_dscnt 0x0
	v_add_f32_e32 v3, v3, v14
	ds_bpermute_b32 v14, v12, v3
	s_wait_dscnt 0x0
	v_add_f32_e32 v3, v3, v14
	ds_bpermute_b32 v14, v13, v3
	;; [unrolled: 3-line block ×4, first 2 shown]
	s_and_saveexec_b32 s5, s2
	s_cbranch_execz .LBB9_6
; %bb.5:
	s_wait_dscnt 0x0
	v_add_f32_e32 v3, v3, v14
	s_delay_alu instid0(VALU_DEP_1) | instskip(NEXT) | instid1(VALU_DEP_1)
	v_div_scale_f32 v14, null, s10, s10, v3
	v_rcp_f32_e32 v16, v14
	v_nop
	s_delay_alu instid0(TRANS32_DEP_1) | instskip(NEXT) | instid1(VALU_DEP_1)
	v_fma_f32 v18, -v14, v16, 1.0
	v_fmac_f32_e32 v16, v18, v16
	v_div_scale_f32 v19, vcc_lo, v3, s10, v3
	s_delay_alu instid0(VALU_DEP_1) | instskip(NEXT) | instid1(VALU_DEP_1)
	v_mul_f32_e32 v18, v19, v16
	v_fma_f32 v22, -v14, v18, v19
	s_delay_alu instid0(VALU_DEP_1) | instskip(NEXT) | instid1(VALU_DEP_1)
	v_fmac_f32_e32 v18, v22, v16
	v_fma_f32 v14, -v14, v18, v19
	s_delay_alu instid0(VALU_DEP_1) | instskip(NEXT) | instid1(VALU_DEP_1)
	v_div_fmas_f32 v14, v14, v16, v18
	v_div_fixup_f32 v3, v14, s10, v3
	v_mov_b32_e32 v14, 0
	ds_store_b32 v14, v3 offset:132
.LBB9_6:
	s_or_b32 exec_lo, exec_lo, s5
	v_mov_b32_e32 v3, 0
	s_wait_dscnt 0x0
	s_barrier_signal -1
	s_barrier_wait -1
	ds_load_b32 v14, v3 offset:132
	s_wait_dscnt 0x0
	v_cvt_f16_f32_e32 v19, v14
	s_delay_alu instid0(VALU_DEP_1) | instskip(SKIP_3) | instid1(VALU_DEP_3)
	v_pk_add_f16 v14, v11, v19 op_sel_hi:[1,0] neg_lo:[0,1] neg_hi:[0,1]
	v_pk_add_f16 v16, v9, v19 op_sel_hi:[1,0] neg_lo:[0,1] neg_hi:[0,1]
	v_pk_add_f16 v18, v7, v19 op_sel_hi:[1,0] neg_lo:[0,1] neg_hi:[0,1]
	v_pk_add_f16 v19, v5, v19 op_sel_hi:[1,0] neg_lo:[0,1] neg_hi:[0,1]
	v_dual_lshrrev_b32 v7, 16, v14 :: v_dual_lshrrev_b32 v9, 16, v16
	s_delay_alu instid0(VALU_DEP_3) | instskip(NEXT) | instid1(VALU_DEP_2)
	v_lshrrev_b32_e32 v11, 16, v18
	v_cvt_f32_f16_e32 v7, v7
	s_delay_alu instid0(VALU_DEP_3) | instskip(NEXT) | instid1(VALU_DEP_3)
	v_cvt_f32_f16_e32 v9, v9
	v_cvt_f32_f16_e32 v5, v11
	v_lshrrev_b32_e32 v11, 16, v19
	s_delay_alu instid0(VALU_DEP_3) | instskip(NEXT) | instid1(VALU_DEP_3)
	v_dual_mul_f32 v7, v7, v7 :: v_dual_mul_f32 v9, v9, v9
	v_mul_f32_e32 v5, v5, v5
	s_delay_alu instid0(VALU_DEP_3) | instskip(NEXT) | instid1(VALU_DEP_3)
	v_cvt_f32_f16_e32 v11, v11
	v_fma_mix_f32 v7, v14, v14, v7 op_sel_hi:[1,1,0]
	s_delay_alu instid0(VALU_DEP_4) | instskip(NEXT) | instid1(VALU_DEP_4)
	v_fma_mix_f32 v9, v16, v16, v9 op_sel_hi:[1,1,0]
	v_fma_mix_f32 v5, v18, v18, v5 op_sel_hi:[1,1,0]
	s_delay_alu instid0(VALU_DEP_2) | instskip(SKIP_1) | instid1(VALU_DEP_2)
	v_add_f32_e32 v7, v7, v9
	v_dual_mul_f32 v9, v11, v11 :: v_dual_ashrrev_i32 v11, 31, v10
	v_add_f32_e32 v5, v7, v5
	s_delay_alu instid0(VALU_DEP_2) | instskip(NEXT) | instid1(VALU_DEP_1)
	v_fma_mix_f32 v7, v19, v19, v9 op_sel_hi:[1,1,0]
	v_dual_ashrrev_i32 v9, 31, v8 :: v_dual_add_f32 v5, v5, v7
	ds_bpermute_b32 v7, v1, v5
	s_wait_dscnt 0x0
	v_add_f32_e32 v5, v5, v7
	ds_bpermute_b32 v7, v12, v5
	s_wait_dscnt 0x0
	v_add_f32_e32 v5, v5, v7
	ds_bpermute_b32 v7, v13, v5
	s_wait_dscnt 0x0
	v_add_f32_e32 v5, v5, v7
	ds_bpermute_b32 v7, v15, v5
	s_wait_dscnt 0x0
	v_dual_add_f32 v22, v5, v7 :: v_dual_ashrrev_i32 v5, 31, v4
	v_ashrrev_i32_e32 v7, 31, v6
	ds_bpermute_b32 v23, v17, v22
	s_and_saveexec_b32 s5, s4
	s_cbranch_execz .LBB9_8
; %bb.7:
	s_wait_dscnt 0x0
	v_add_f32_e32 v22, v22, v23
	ds_store_b32 v21, v22
.LBB9_8:
	s_or_b32 exec_lo, exec_lo, s5
	s_load_b128 s[4:7], s[0:1], 0x18
	s_wait_dscnt 0x0
	s_barrier_signal -1
	s_barrier_wait -1
	s_wait_xcnt 0x0
	s_and_saveexec_b32 s0, s3
; %bb.9:
	ds_load_b32 v3, v20
; %bb.10:
	s_or_b32 exec_lo, exec_lo, s0
	s_wait_dscnt 0x0
	ds_bpermute_b32 v1, v1, v3
	v_lshl_add_u64 v[4:5], v[4:5], 2, s[8:9]
	v_lshl_add_u64 v[6:7], v[6:7], 2, s[8:9]
	;; [unrolled: 1-line block ×4, first 2 shown]
	s_wait_dscnt 0x0
	v_add_f32_e32 v1, v3, v1
	ds_bpermute_b32 v3, v12, v1
	s_wait_dscnt 0x0
	v_add_f32_e32 v1, v1, v3
	ds_bpermute_b32 v3, v13, v1
	;; [unrolled: 3-line block ×4, first 2 shown]
	s_and_saveexec_b32 s0, s2
	s_cbranch_execz .LBB9_12
; %bb.11:
	s_wait_dscnt 0x0
	v_add_f32_e32 v1, v1, v3
	s_delay_alu instid0(VALU_DEP_1) | instskip(SKIP_1) | instid1(VALU_DEP_2)
	v_div_scale_f32 v3, null, s10, s10, v1
	v_div_scale_f32 v15, vcc_lo, v1, s10, v1
	v_rcp_f32_e32 v12, v3
	v_nop
	s_delay_alu instid0(TRANS32_DEP_1) | instskip(NEXT) | instid1(VALU_DEP_1)
	v_fma_f32 v13, -v3, v12, 1.0
	v_fmac_f32_e32 v12, v13, v12
	s_delay_alu instid0(VALU_DEP_1) | instskip(NEXT) | instid1(VALU_DEP_1)
	v_mul_f32_e32 v13, v15, v12
	v_fma_f32 v17, -v3, v13, v15
	s_delay_alu instid0(VALU_DEP_1) | instskip(NEXT) | instid1(VALU_DEP_1)
	v_fmac_f32_e32 v13, v17, v12
	v_fma_f32 v3, -v3, v13, v15
	s_delay_alu instid0(VALU_DEP_1) | instskip(NEXT) | instid1(VALU_DEP_1)
	v_div_fmas_f32 v3, v3, v12, v13
	v_div_fixup_f32 v1, v3, s10, v1
	s_delay_alu instid0(VALU_DEP_1) | instskip(NEXT) | instid1(VALU_DEP_1)
	v_add_f32_e32 v1, s14, v1
	v_mul_f32_e32 v3, 0x4b800000, v1
	v_cmp_gt_f32_e32 vcc_lo, 0x800000, v1
	s_delay_alu instid0(VALU_DEP_2) | instskip(NEXT) | instid1(VALU_DEP_1)
	v_cndmask_b32_e32 v1, v1, v3, vcc_lo
	v_rsq_f32_e32 v1, v1
	v_nop
	s_delay_alu instid0(TRANS32_DEP_1) | instskip(NEXT) | instid1(VALU_DEP_1)
	v_mul_f32_e32 v3, 0x45800000, v1
	v_dual_cndmask_b32 v1, v1, v3, vcc_lo :: v_dual_mov_b32 v3, 0
	ds_store_b32 v3, v1 offset:128
.LBB9_12:
	s_or_b32 exec_lo, exec_lo, s0
	s_wait_dscnt 0x0
	v_mov_b32_e32 v3, 0
	s_barrier_signal -1
	s_barrier_wait -1
	s_wait_kmcnt 0x0
	s_delay_alu instid0(VALU_DEP_1) | instskip(SKIP_1) | instid1(VALU_DEP_2)
	v_add_nc_u64_e32 v[12:13], s[4:5], v[2:3]
	v_add_nc_u64_e32 v[20:21], s[6:7], v[2:3]
	;; [unrolled: 1-line block ×3, first 2 shown]
	s_delay_alu instid0(VALU_DEP_2) | instskip(NEXT) | instid1(VALU_DEP_2)
	v_add_nc_u64_e32 v[20:21], s[12:13], v[20:21]
	v_add_nc_u64_e32 v[22:23], s[12:13], v[12:13]
	s_delay_alu instid0(VALU_DEP_2) | instskip(NEXT) | instid1(VALU_DEP_2)
	v_add_nc_u64_e32 v[24:25], s[12:13], v[20:21]
	v_add_nc_u64_e32 v[26:27], s[12:13], v[22:23]
	s_delay_alu instid0(VALU_DEP_2)
	v_add_nc_u64_e32 v[28:29], s[12:13], v[24:25]
	s_clause 0x1
	global_load_b32 v1, v0, s[4:5] scale_offset
	global_load_b32 v2, v0, s[6:7] scale_offset
	global_load_b32 v15, v[12:13], off
	global_load_b32 v17, v[20:21], off
	;; [unrolled: 1-line block ×6, first 2 shown]
	s_wait_xcnt 0x6
	ds_load_b32 v0, v3 offset:128
	s_wait_dscnt 0x0
	v_cvt_f16_f32_e32 v0, v0
	s_delay_alu instid0(VALU_DEP_1)
	v_pk_mul_f16 v3, v0, v14 op_sel_hi:[0,1]
	s_wait_xcnt 0x5
	v_pk_mul_f16 v12, v0, v16 op_sel_hi:[0,1]
	v_pk_mul_f16 v13, v0, v18 op_sel_hi:[0,1]
	;; [unrolled: 1-line block ×3, first 2 shown]
	s_wait_loadcnt 0x6
	v_pk_fma_f16 v1, v3, v1, v2
	s_wait_loadcnt 0x4
	v_pk_fma_f16 v2, v12, v15, v17
	;; [unrolled: 2-line block ×4, first 2 shown]
	s_clause 0x3
	global_store_b32 v[4:5], v1, off
	global_store_b32 v[6:7], v2, off
	global_store_b32 v[8:9], v3, off
	global_store_b32 v[10:11], v0, off
	s_endpgm
	.section	.rodata,"a",@progbits
	.p2align	6, 0x0
	.amdhsa_kernel _Z30addBiasResidualPostLayerNormV2I6__halfLi32EEvPT_PKS1_S4_S4_S4_fi
		.amdhsa_group_segment_fixed_size 136
		.amdhsa_private_segment_fixed_size 0
		.amdhsa_kernarg_size 304
		.amdhsa_user_sgpr_count 2
		.amdhsa_user_sgpr_dispatch_ptr 0
		.amdhsa_user_sgpr_queue_ptr 0
		.amdhsa_user_sgpr_kernarg_segment_ptr 1
		.amdhsa_user_sgpr_dispatch_id 0
		.amdhsa_user_sgpr_kernarg_preload_length 0
		.amdhsa_user_sgpr_kernarg_preload_offset 0
		.amdhsa_user_sgpr_private_segment_size 0
		.amdhsa_wavefront_size32 1
		.amdhsa_uses_dynamic_stack 0
		.amdhsa_enable_private_segment 0
		.amdhsa_system_sgpr_workgroup_id_x 1
		.amdhsa_system_sgpr_workgroup_id_y 0
		.amdhsa_system_sgpr_workgroup_id_z 0
		.amdhsa_system_sgpr_workgroup_info 0
		.amdhsa_system_vgpr_workitem_id 0
		.amdhsa_next_free_vgpr 34
		.amdhsa_next_free_sgpr 16
		.amdhsa_named_barrier_count 0
		.amdhsa_reserve_vcc 1
		.amdhsa_float_round_mode_32 0
		.amdhsa_float_round_mode_16_64 0
		.amdhsa_float_denorm_mode_32 3
		.amdhsa_float_denorm_mode_16_64 3
		.amdhsa_fp16_overflow 0
		.amdhsa_memory_ordered 1
		.amdhsa_forward_progress 1
		.amdhsa_inst_pref_size 16
		.amdhsa_round_robin_scheduling 0
		.amdhsa_exception_fp_ieee_invalid_op 0
		.amdhsa_exception_fp_denorm_src 0
		.amdhsa_exception_fp_ieee_div_zero 0
		.amdhsa_exception_fp_ieee_overflow 0
		.amdhsa_exception_fp_ieee_underflow 0
		.amdhsa_exception_fp_ieee_inexact 0
		.amdhsa_exception_int_div_zero 0
	.end_amdhsa_kernel
	.section	.text._Z30addBiasResidualPostLayerNormV2I6__halfLi32EEvPT_PKS1_S4_S4_S4_fi,"axG",@progbits,_Z30addBiasResidualPostLayerNormV2I6__halfLi32EEvPT_PKS1_S4_S4_S4_fi,comdat
.Lfunc_end9:
	.size	_Z30addBiasResidualPostLayerNormV2I6__halfLi32EEvPT_PKS1_S4_S4_S4_fi, .Lfunc_end9-_Z30addBiasResidualPostLayerNormV2I6__halfLi32EEvPT_PKS1_S4_S4_S4_fi
                                        ; -- End function
	.set _Z30addBiasResidualPostLayerNormV2I6__halfLi32EEvPT_PKS1_S4_S4_S4_fi.num_vgpr, 34
	.set _Z30addBiasResidualPostLayerNormV2I6__halfLi32EEvPT_PKS1_S4_S4_S4_fi.num_agpr, 0
	.set _Z30addBiasResidualPostLayerNormV2I6__halfLi32EEvPT_PKS1_S4_S4_S4_fi.numbered_sgpr, 16
	.set _Z30addBiasResidualPostLayerNormV2I6__halfLi32EEvPT_PKS1_S4_S4_S4_fi.num_named_barrier, 0
	.set _Z30addBiasResidualPostLayerNormV2I6__halfLi32EEvPT_PKS1_S4_S4_S4_fi.private_seg_size, 0
	.set _Z30addBiasResidualPostLayerNormV2I6__halfLi32EEvPT_PKS1_S4_S4_S4_fi.uses_vcc, 1
	.set _Z30addBiasResidualPostLayerNormV2I6__halfLi32EEvPT_PKS1_S4_S4_S4_fi.uses_flat_scratch, 0
	.set _Z30addBiasResidualPostLayerNormV2I6__halfLi32EEvPT_PKS1_S4_S4_S4_fi.has_dyn_sized_stack, 0
	.set _Z30addBiasResidualPostLayerNormV2I6__halfLi32EEvPT_PKS1_S4_S4_S4_fi.has_recursion, 0
	.set _Z30addBiasResidualPostLayerNormV2I6__halfLi32EEvPT_PKS1_S4_S4_S4_fi.has_indirect_call, 0
	.section	.AMDGPU.csdata,"",@progbits
; Kernel info:
; codeLenInByte = 1972
; TotalNumSgprs: 18
; NumVgprs: 34
; ScratchSize: 0
; MemoryBound: 0
; FloatMode: 240
; IeeeMode: 1
; LDSByteSize: 136 bytes/workgroup (compile time only)
; SGPRBlocks: 0
; VGPRBlocks: 2
; NumSGPRsForWavesPerEU: 18
; NumVGPRsForWavesPerEU: 34
; NamedBarCnt: 0
; Occupancy: 16
; WaveLimiterHint : 0
; COMPUTE_PGM_RSRC2:SCRATCH_EN: 0
; COMPUTE_PGM_RSRC2:USER_SGPR: 2
; COMPUTE_PGM_RSRC2:TRAP_HANDLER: 0
; COMPUTE_PGM_RSRC2:TGID_X_EN: 1
; COMPUTE_PGM_RSRC2:TGID_Y_EN: 0
; COMPUTE_PGM_RSRC2:TGID_Z_EN: 0
; COMPUTE_PGM_RSRC2:TIDIG_COMP_CNT: 0
	.section	.text._Z28addBiasResidualPostLayerNormI6__halfLi1ELi64EEvPT_PKS1_S4_S4_S4_fi,"axG",@progbits,_Z28addBiasResidualPostLayerNormI6__halfLi1ELi64EEvPT_PKS1_S4_S4_S4_fi,comdat
	.protected	_Z28addBiasResidualPostLayerNormI6__halfLi1ELi64EEvPT_PKS1_S4_S4_S4_fi ; -- Begin function _Z28addBiasResidualPostLayerNormI6__halfLi1ELi64EEvPT_PKS1_S4_S4_S4_fi
	.globl	_Z28addBiasResidualPostLayerNormI6__halfLi1ELi64EEvPT_PKS1_S4_S4_S4_fi
	.p2align	8
	.type	_Z28addBiasResidualPostLayerNormI6__halfLi1ELi64EEvPT_PKS1_S4_S4_S4_fi,@function
_Z28addBiasResidualPostLayerNormI6__halfLi1ELi64EEvPT_PKS1_S4_S4_S4_fi: ; @_Z28addBiasResidualPostLayerNormI6__halfLi1ELi64EEvPT_PKS1_S4_S4_S4_fi
; %bb.0:
	s_clause 0x1
	s_load_b64 s[8:9], s[0:1], 0x28
	s_load_b64 s[6:7], s[0:1], 0x0
	v_mov_b32_e32 v4, 0
	s_getreg_b32 s10, hwreg(HW_REG_IB_STS2, 6, 4)
                                        ; implicit-def: $vgpr1
	s_wait_kmcnt 0x0
	v_cmp_gt_i32_e64 s2, s9, v0
	s_and_saveexec_b32 s3, s2
	s_cbranch_execz .LBB10_2
; %bb.1:
	s_bfe_u32 s4, ttmp6, 0x4000c
	s_load_b128 s[12:15], s[0:1], 0x8
	s_add_co_i32 s4, s4, 1
	s_and_b32 s5, ttmp6, 15
	s_mul_i32 s4, ttmp9, s4
	s_delay_alu instid0(SALU_CYCLE_1) | instskip(SKIP_2) | instid1(SALU_CYCLE_1)
	s_add_co_i32 s5, s5, s4
	s_cmp_eq_u32 s10, 0
	s_cselect_b32 s4, ttmp9, s5
	v_mad_u32 v1, s9, s4, v0
	global_load_u16 v2, v1, s[6:7] scale_offset
	s_wait_kmcnt 0x0
	global_load_u16 v3, v1, s[12:13] scale_offset
	global_load_u16 v4, v0, s[14:15] scale_offset
	s_wait_loadcnt 0x1
	s_wait_xcnt 0x1
	v_add_f16_e32 v1, v2, v3
	s_wait_loadcnt 0x0
	s_delay_alu instid0(VALU_DEP_1) | instskip(NEXT) | instid1(VALU_DEP_1)
	v_add_f16_e32 v1, v1, v4
	v_cvt_f32_f16_e32 v1, v1
	s_delay_alu instid0(VALU_DEP_1)
	v_add_f32_e32 v4, 0, v1
.LBB10_2:
	s_or_b32 exec_lo, exec_lo, s3
	v_mbcnt_lo_u32_b32 v7, -1, 0
	s_delay_alu instid0(VALU_DEP_1) | instskip(SKIP_2) | instid1(VALU_DEP_3)
	v_or_b32_e32 v2, 32, v7
	v_xor_b32_e32 v3, 16, v7
	v_xor_b32_e32 v10, 1, v7
	v_cmp_gt_i32_e32 vcc_lo, 64, v2
	v_cndmask_b32_e32 v2, v7, v2, vcc_lo
	s_delay_alu instid0(VALU_DEP_4) | instskip(NEXT) | instid1(VALU_DEP_2)
	v_cmp_gt_i32_e32 vcc_lo, 64, v3
	v_dual_cndmask_b32 v3, v7, v3 :: v_dual_lshlrev_b32 v2, 2, v2
	ds_bpermute_b32 v5, v2, v4
	s_wait_dscnt 0x0
	v_dual_add_f32 v5, v4, v5 :: v_dual_bitop2_b32 v4, 8, v7 bitop3:0x14
	s_delay_alu instid0(VALU_DEP_1)
	v_cmp_gt_i32_e32 vcc_lo, 64, v4
	v_dual_cndmask_b32 v4, v7, v4 :: v_dual_lshlrev_b32 v3, 2, v3
	ds_bpermute_b32 v6, v3, v5
	s_wait_dscnt 0x0
	v_dual_lshlrev_b32 v4, 2, v4 :: v_dual_add_f32 v6, v5, v6
	v_xor_b32_e32 v5, 4, v7
	ds_bpermute_b32 v8, v4, v6
	v_cmp_gt_i32_e32 vcc_lo, 64, v5
	s_wait_dscnt 0x0
	v_dual_cndmask_b32 v5, v7, v5 :: v_dual_add_f32 v8, v6, v8
	s_delay_alu instid0(VALU_DEP_1)
	v_dual_lshlrev_b32 v5, 2, v5 :: v_dual_bitop2_b32 v6, 2, v7 bitop3:0x14
	ds_bpermute_b32 v9, v5, v8
	v_cmp_gt_i32_e32 vcc_lo, 64, v6
	v_cndmask_b32_e32 v6, v7, v6, vcc_lo
	v_cmp_gt_i32_e32 vcc_lo, 64, v10
	s_wait_dscnt 0x0
	s_delay_alu instid0(VALU_DEP_2) | instskip(SKIP_3) | instid1(VALU_DEP_1)
	v_dual_add_f32 v8, v8, v9 :: v_dual_lshlrev_b32 v6, 2, v6
	ds_bpermute_b32 v9, v6, v8
	s_wait_dscnt 0x0
	v_dual_cndmask_b32 v7, v7, v10 :: v_dual_add_f32 v10, v8, v9
	v_dual_lshlrev_b32 v7, 2, v7 :: v_dual_bitop2_b32 v9, 63, v0 bitop3:0x40
	v_lshrrev_b32_e32 v8, 4, v0
	ds_bpermute_b32 v11, v7, v10
	v_cmp_eq_u32_e64 s3, 0, v9
	s_and_saveexec_b32 s4, s3
	s_cbranch_execz .LBB10_4
; %bb.3:
	s_wait_dscnt 0x0
	v_add_f32_e32 v10, v10, v11
	ds_store_b32 v8, v10
.LBB10_4:
	s_or_b32 exec_lo, exec_lo, s4
	s_wait_dscnt 0x0
	s_barrier_signal -1
	s_barrier_wait -1
	s_load_b32 s4, s[0:1], 0x3c
	v_dual_mov_b32 v10, 0 :: v_dual_lshlrev_b32 v9, 2, v9
	s_wait_kmcnt 0x0
	s_bfe_u32 s4, s4, 0xa0006
	s_delay_alu instid0(SALU_CYCLE_1)
	v_cmp_gt_u32_e64 s4, s4, v0
	s_and_saveexec_b32 s5, s4
; %bb.5:
	ds_load_b32 v10, v9
; %bb.6:
	s_or_b32 exec_lo, exec_lo, s5
	s_wait_dscnt 0x0
	ds_bpermute_b32 v11, v2, v10
	v_cmp_eq_u32_e64 s5, 0, v0
	s_cvt_f32_i32 s11, s9
	s_wait_dscnt 0x0
	v_add_f32_e32 v10, v10, v11
	ds_bpermute_b32 v11, v3, v10
	s_wait_dscnt 0x0
	v_add_f32_e32 v10, v10, v11
	ds_bpermute_b32 v11, v4, v10
	;; [unrolled: 3-line block ×5, first 2 shown]
	s_and_saveexec_b32 s12, s5
	s_cbranch_execz .LBB10_8
; %bb.7:
	s_wait_dscnt 0x0
	v_add_f32_e32 v10, v10, v11
	s_delay_alu instid0(VALU_DEP_1) | instskip(NEXT) | instid1(VALU_DEP_1)
	v_div_scale_f32 v11, null, s11, s11, v10
	v_rcp_f32_e32 v12, v11
	v_nop
	s_delay_alu instid0(TRANS32_DEP_1) | instskip(NEXT) | instid1(VALU_DEP_1)
	v_fma_f32 v13, -v11, v12, 1.0
	v_fmac_f32_e32 v12, v13, v12
	v_div_scale_f32 v14, vcc_lo, v10, s11, v10
	s_delay_alu instid0(VALU_DEP_1) | instskip(NEXT) | instid1(VALU_DEP_1)
	v_mul_f32_e32 v13, v14, v12
	v_fma_f32 v15, -v11, v13, v14
	s_delay_alu instid0(VALU_DEP_1) | instskip(NEXT) | instid1(VALU_DEP_1)
	v_fmac_f32_e32 v13, v15, v12
	v_fma_f32 v11, -v11, v13, v14
	s_delay_alu instid0(VALU_DEP_1) | instskip(NEXT) | instid1(VALU_DEP_1)
	v_div_fmas_f32 v11, v11, v12, v13
	v_div_fixup_f32 v10, v11, s11, v10
	v_mov_b32_e32 v11, 0
	ds_store_b32 v11, v10 offset:68
.LBB10_8:
	s_or_b32 exec_lo, exec_lo, s12
	v_mov_b32_e32 v10, 0
	s_wait_dscnt 0x0
	s_barrier_signal -1
	s_barrier_wait -1
	ds_load_b32 v11, v10 offset:68
	s_wait_dscnt 0x0
	v_sub_f32_e32 v11, v1, v11
	s_delay_alu instid0(VALU_DEP_1) | instskip(NEXT) | instid1(VALU_DEP_1)
	v_mul_f32_e32 v11, v11, v11
	v_cndmask_b32_e64 v11, 0, v11, s2
	ds_bpermute_b32 v12, v2, v11
	s_wait_dscnt 0x0
	v_add_f32_e32 v11, v11, v12
	ds_bpermute_b32 v12, v3, v11
	s_wait_dscnt 0x0
	v_add_f32_e32 v11, v11, v12
	;; [unrolled: 3-line block ×5, first 2 shown]
	ds_bpermute_b32 v12, v7, v11
	s_and_saveexec_b32 s12, s3
	s_cbranch_execz .LBB10_10
; %bb.9:
	s_wait_dscnt 0x0
	v_add_f32_e32 v11, v11, v12
	ds_store_b32 v8, v11
.LBB10_10:
	s_or_b32 exec_lo, exec_lo, s12
	s_wait_dscnt 0x0
	s_barrier_signal -1
	s_barrier_wait -1
	s_and_saveexec_b32 s3, s4
; %bb.11:
	ds_load_b32 v10, v9
; %bb.12:
	s_or_b32 exec_lo, exec_lo, s3
	s_wait_dscnt 0x0
	ds_bpermute_b32 v2, v2, v10
	s_wait_dscnt 0x0
	v_add_f32_e32 v2, v10, v2
	ds_bpermute_b32 v3, v3, v2
	s_wait_dscnt 0x0
	v_add_f32_e32 v2, v2, v3
	ds_bpermute_b32 v3, v4, v2
	s_wait_dscnt 0x0
	v_add_f32_e32 v2, v2, v3
	ds_bpermute_b32 v3, v5, v2
	s_wait_dscnt 0x0
	v_add_f32_e32 v2, v2, v3
	ds_bpermute_b32 v3, v6, v2
	s_wait_dscnt 0x0
	v_add_f32_e32 v2, v2, v3
	ds_bpermute_b32 v3, v7, v2
	s_and_saveexec_b32 s3, s5
	s_cbranch_execz .LBB10_14
; %bb.13:
	s_wait_dscnt 0x0
	v_add_f32_e32 v2, v2, v3
	s_delay_alu instid0(VALU_DEP_1) | instskip(NEXT) | instid1(VALU_DEP_1)
	v_div_scale_f32 v3, null, s11, s11, v2
	v_rcp_f32_e32 v4, v3
	v_nop
	s_delay_alu instid0(TRANS32_DEP_1) | instskip(NEXT) | instid1(VALU_DEP_1)
	v_fma_f32 v5, -v3, v4, 1.0
	v_fmac_f32_e32 v4, v5, v4
	v_div_scale_f32 v6, vcc_lo, v2, s11, v2
	s_delay_alu instid0(VALU_DEP_1) | instskip(NEXT) | instid1(VALU_DEP_1)
	v_mul_f32_e32 v5, v6, v4
	v_fma_f32 v7, -v3, v5, v6
	s_delay_alu instid0(VALU_DEP_1) | instskip(NEXT) | instid1(VALU_DEP_1)
	v_fmac_f32_e32 v5, v7, v4
	v_fma_f32 v3, -v3, v5, v6
	s_delay_alu instid0(VALU_DEP_1) | instskip(NEXT) | instid1(VALU_DEP_1)
	v_div_fmas_f32 v3, v3, v4, v5
	v_div_fixup_f32 v2, v3, s11, v2
	s_delay_alu instid0(VALU_DEP_1)
	v_dual_mov_b32 v3, 0 :: v_dual_add_f32 v2, s8, v2
	ds_store_b32 v3, v2 offset:64
.LBB10_14:
	s_or_b32 exec_lo, exec_lo, s3
	s_wait_dscnt 0x0
	s_barrier_signal -1
	s_barrier_wait -1
	s_and_saveexec_b32 s3, s2
	s_cbranch_execz .LBB10_16
; %bb.15:
	s_load_b128 s[12:15], s[0:1], 0x18
	v_mov_b32_e32 v2, 0
	s_wait_kmcnt 0x0
	s_clause 0x1
	global_load_u16 v4, v0, s[12:13] scale_offset
	global_load_u16 v5, v0, s[14:15] scale_offset
	ds_load_b64 v[2:3], v2 offset:64
	s_wait_dscnt 0x0
	v_readfirstlane_b32 s0, v2
	v_sub_f32_e32 v1, v1, v3
	s_cmp_lt_f32 s0, 0x800000
	s_mul_f32 s1, s0, 0x4b800000
	s_delay_alu instid0(SALU_CYCLE_3) | instskip(NEXT) | instid1(SALU_CYCLE_1)
	s_cselect_b32 s0, s1, s0
	v_s_rsq_f32 s0, s0
	s_delay_alu instid0(TRANS32_DEP_1) | instskip(NEXT) | instid1(SALU_CYCLE_3)
	s_mul_f32 s1, s0, 0x45800000
	s_cselect_b32 s0, s1, s0
	s_bfe_u32 s1, ttmp6, 0x4000c
	s_and_b32 s2, ttmp6, 15
	s_add_co_i32 s1, s1, 1
	v_nop
	v_mul_f32_e32 v1, s0, v1
	s_mul_i32 s1, ttmp9, s1
	s_delay_alu instid0(SALU_CYCLE_1)
	s_add_co_i32 s2, s2, s1
	s_cmp_eq_u32 s10, 0
	s_cselect_b32 s1, ttmp9, s2
	s_wait_xcnt 0x0
	v_mad_u32 v0, s9, s1, v0
	s_wait_loadcnt 0x0
	v_fma_mixlo_f16 v1, v1, v4, v5 op_sel_hi:[0,1,1]
	global_store_b16 v0, v1, s[6:7] scale_offset
.LBB10_16:
	s_endpgm
	.section	.rodata,"a",@progbits
	.p2align	6, 0x0
	.amdhsa_kernel _Z28addBiasResidualPostLayerNormI6__halfLi1ELi64EEvPT_PKS1_S4_S4_S4_fi
		.amdhsa_group_segment_fixed_size 72
		.amdhsa_private_segment_fixed_size 0
		.amdhsa_kernarg_size 304
		.amdhsa_user_sgpr_count 2
		.amdhsa_user_sgpr_dispatch_ptr 0
		.amdhsa_user_sgpr_queue_ptr 0
		.amdhsa_user_sgpr_kernarg_segment_ptr 1
		.amdhsa_user_sgpr_dispatch_id 0
		.amdhsa_user_sgpr_kernarg_preload_length 0
		.amdhsa_user_sgpr_kernarg_preload_offset 0
		.amdhsa_user_sgpr_private_segment_size 0
		.amdhsa_wavefront_size32 1
		.amdhsa_uses_dynamic_stack 0
		.amdhsa_enable_private_segment 0
		.amdhsa_system_sgpr_workgroup_id_x 1
		.amdhsa_system_sgpr_workgroup_id_y 0
		.amdhsa_system_sgpr_workgroup_id_z 0
		.amdhsa_system_sgpr_workgroup_info 0
		.amdhsa_system_vgpr_workitem_id 0
		.amdhsa_next_free_vgpr 16
		.amdhsa_next_free_sgpr 16
		.amdhsa_named_barrier_count 0
		.amdhsa_reserve_vcc 1
		.amdhsa_float_round_mode_32 0
		.amdhsa_float_round_mode_16_64 0
		.amdhsa_float_denorm_mode_32 3
		.amdhsa_float_denorm_mode_16_64 3
		.amdhsa_fp16_overflow 0
		.amdhsa_memory_ordered 1
		.amdhsa_forward_progress 1
		.amdhsa_inst_pref_size 11
		.amdhsa_round_robin_scheduling 0
		.amdhsa_exception_fp_ieee_invalid_op 0
		.amdhsa_exception_fp_denorm_src 0
		.amdhsa_exception_fp_ieee_div_zero 0
		.amdhsa_exception_fp_ieee_overflow 0
		.amdhsa_exception_fp_ieee_underflow 0
		.amdhsa_exception_fp_ieee_inexact 0
		.amdhsa_exception_int_div_zero 0
	.end_amdhsa_kernel
	.section	.text._Z28addBiasResidualPostLayerNormI6__halfLi1ELi64EEvPT_PKS1_S4_S4_S4_fi,"axG",@progbits,_Z28addBiasResidualPostLayerNormI6__halfLi1ELi64EEvPT_PKS1_S4_S4_S4_fi,comdat
.Lfunc_end10:
	.size	_Z28addBiasResidualPostLayerNormI6__halfLi1ELi64EEvPT_PKS1_S4_S4_S4_fi, .Lfunc_end10-_Z28addBiasResidualPostLayerNormI6__halfLi1ELi64EEvPT_PKS1_S4_S4_S4_fi
                                        ; -- End function
	.set _Z28addBiasResidualPostLayerNormI6__halfLi1ELi64EEvPT_PKS1_S4_S4_S4_fi.num_vgpr, 16
	.set _Z28addBiasResidualPostLayerNormI6__halfLi1ELi64EEvPT_PKS1_S4_S4_S4_fi.num_agpr, 0
	.set _Z28addBiasResidualPostLayerNormI6__halfLi1ELi64EEvPT_PKS1_S4_S4_S4_fi.numbered_sgpr, 16
	.set _Z28addBiasResidualPostLayerNormI6__halfLi1ELi64EEvPT_PKS1_S4_S4_S4_fi.num_named_barrier, 0
	.set _Z28addBiasResidualPostLayerNormI6__halfLi1ELi64EEvPT_PKS1_S4_S4_S4_fi.private_seg_size, 0
	.set _Z28addBiasResidualPostLayerNormI6__halfLi1ELi64EEvPT_PKS1_S4_S4_S4_fi.uses_vcc, 1
	.set _Z28addBiasResidualPostLayerNormI6__halfLi1ELi64EEvPT_PKS1_S4_S4_S4_fi.uses_flat_scratch, 0
	.set _Z28addBiasResidualPostLayerNormI6__halfLi1ELi64EEvPT_PKS1_S4_S4_S4_fi.has_dyn_sized_stack, 0
	.set _Z28addBiasResidualPostLayerNormI6__halfLi1ELi64EEvPT_PKS1_S4_S4_S4_fi.has_recursion, 0
	.set _Z28addBiasResidualPostLayerNormI6__halfLi1ELi64EEvPT_PKS1_S4_S4_S4_fi.has_indirect_call, 0
	.section	.AMDGPU.csdata,"",@progbits
; Kernel info:
; codeLenInByte = 1392
; TotalNumSgprs: 18
; NumVgprs: 16
; ScratchSize: 0
; MemoryBound: 0
; FloatMode: 240
; IeeeMode: 1
; LDSByteSize: 72 bytes/workgroup (compile time only)
; SGPRBlocks: 0
; VGPRBlocks: 0
; NumSGPRsForWavesPerEU: 18
; NumVGPRsForWavesPerEU: 16
; NamedBarCnt: 0
; Occupancy: 16
; WaveLimiterHint : 0
; COMPUTE_PGM_RSRC2:SCRATCH_EN: 0
; COMPUTE_PGM_RSRC2:USER_SGPR: 2
; COMPUTE_PGM_RSRC2:TRAP_HANDLER: 0
; COMPUTE_PGM_RSRC2:TGID_X_EN: 1
; COMPUTE_PGM_RSRC2:TGID_Y_EN: 0
; COMPUTE_PGM_RSRC2:TGID_Z_EN: 0
; COMPUTE_PGM_RSRC2:TIDIG_COMP_CNT: 0
	.section	.text._Z28addBiasResidualPostLayerNormI6__halfLi2ELi64EEvPT_PKS1_S4_S4_S4_fi,"axG",@progbits,_Z28addBiasResidualPostLayerNormI6__halfLi2ELi64EEvPT_PKS1_S4_S4_S4_fi,comdat
	.protected	_Z28addBiasResidualPostLayerNormI6__halfLi2ELi64EEvPT_PKS1_S4_S4_S4_fi ; -- Begin function _Z28addBiasResidualPostLayerNormI6__halfLi2ELi64EEvPT_PKS1_S4_S4_S4_fi
	.globl	_Z28addBiasResidualPostLayerNormI6__halfLi2ELi64EEvPT_PKS1_S4_S4_S4_fi
	.p2align	8
	.type	_Z28addBiasResidualPostLayerNormI6__halfLi2ELi64EEvPT_PKS1_S4_S4_S4_fi,@function
_Z28addBiasResidualPostLayerNormI6__halfLi2ELi64EEvPT_PKS1_S4_S4_S4_fi: ; @_Z28addBiasResidualPostLayerNormI6__halfLi2ELi64EEvPT_PKS1_S4_S4_S4_fi
; %bb.0:
	s_clause 0x1
	s_load_b64 s[10:11], s[0:1], 0x28
	s_load_b64 s[8:9], s[0:1], 0x0
	v_dual_mov_b32 v5, 0 :: v_dual_mov_b32 v4, 0
	v_mov_b32_e32 v3, 0
	s_getreg_b32 s14, hwreg(HW_REG_IB_STS2, 6, 4)
	s_wait_kmcnt 0x0
	v_cmp_gt_i32_e64 s2, s11, v0
	s_and_saveexec_b32 s3, s2
	s_cbranch_execz .LBB11_4
; %bb.1:
	s_load_b128 s[4:7], s[0:1], 0x8
	s_bfe_u32 s12, ttmp6, 0x4000c
	s_and_b32 s13, ttmp6, 15
	s_add_co_i32 s12, s12, 1
	s_mov_b32 s15, exec_lo
	s_mul_i32 s12, ttmp9, s12
	s_delay_alu instid0(SALU_CYCLE_1) | instskip(SKIP_4) | instid1(SALU_CYCLE_1)
	s_add_co_i32 s13, s13, s12
	s_cmp_eq_u32 s14, 0
	s_cselect_b32 s12, ttmp9, s13
	s_load_b32 s13, s[0:1], 0x3c
	s_mul_i32 s12, s11, s12
	v_add_nc_u32_e32 v1, s12, v0
	global_load_u16 v2, v1, s[8:9] scale_offset
	s_wait_kmcnt 0x0
	global_load_u16 v3, v1, s[4:5] scale_offset
	global_load_u16 v4, v0, s[6:7] scale_offset
	s_and_b32 s16, s13, 0xffff
	s_mov_b32 s13, 0
	s_wait_loadcnt 0x1
	s_wait_xcnt 0x1
	v_add_f16_e32 v1, v2, v3
	v_mov_b32_e32 v3, 0
	s_wait_loadcnt 0x0
	s_delay_alu instid0(VALU_DEP_2) | instskip(NEXT) | instid1(VALU_DEP_1)
	v_add_f16_e32 v1, v1, v4
	v_cvt_f32_f16_e32 v4, v1
	v_add_nc_u32_e32 v1, s16, v0
	s_delay_alu instid0(VALU_DEP_2) | instskip(NEXT) | instid1(VALU_DEP_2)
	v_add_f32_e32 v5, 0, v4
	v_cmpx_gt_u32_e64 s11, v1
	s_cbranch_execz .LBB11_3
; %bb.2:
	v_dual_lshlrev_b32 v2, 1, v0 :: v_dual_add_nc_u32 v1, s12, v1
	s_lshl_b32 s12, s16, 1
	s_delay_alu instid0(VALU_DEP_1) | instskip(NEXT) | instid1(VALU_DEP_1)
	v_add_nc_u64_e32 v[2:3], s[6:7], v[2:3]
	v_add_nc_u64_e32 v[2:3], s[12:13], v[2:3]
	s_clause 0x1
	global_load_u16 v6, v1, s[8:9] scale_offset
	global_load_u16 v7, v1, s[4:5] scale_offset
	global_load_u16 v8, v[2:3], off
	s_wait_loadcnt 0x1
	s_wait_xcnt 0x1
	v_add_f16_e32 v1, v6, v7
	s_wait_loadcnt 0x0
	s_delay_alu instid0(VALU_DEP_1) | instskip(NEXT) | instid1(VALU_DEP_1)
	v_add_f16_e32 v1, v1, v8
	v_cvt_f32_f16_e32 v3, v1
	s_delay_alu instid0(VALU_DEP_1)
	v_add_f32_e32 v5, v5, v3
.LBB11_3:
	s_or_b32 exec_lo, exec_lo, s15
.LBB11_4:
	s_delay_alu instid0(SALU_CYCLE_1) | instskip(SKIP_1) | instid1(VALU_DEP_1)
	s_or_b32 exec_lo, exec_lo, s3
	v_mbcnt_lo_u32_b32 v2, -1, 0
	v_or_b32_e32 v1, 32, v2
	v_xor_b32_e32 v6, 16, v2
	v_xor_b32_e32 v11, 1, v2
	s_delay_alu instid0(VALU_DEP_3) | instskip(SKIP_1) | instid1(VALU_DEP_4)
	v_cmp_gt_i32_e32 vcc_lo, 64, v1
	v_cndmask_b32_e32 v1, v2, v1, vcc_lo
	v_cmp_gt_i32_e32 vcc_lo, 64, v6
	s_delay_alu instid0(VALU_DEP_2) | instskip(SKIP_3) | instid1(VALU_DEP_1)
	v_dual_cndmask_b32 v6, v2, v6 :: v_dual_lshlrev_b32 v1, 2, v1
	ds_bpermute_b32 v7, v1, v5
	s_wait_dscnt 0x0
	v_dual_add_f32 v5, v5, v7 :: v_dual_bitop2_b32 v7, 8, v2 bitop3:0x14
	v_cmp_gt_i32_e32 vcc_lo, 64, v7
	v_dual_cndmask_b32 v7, v2, v7 :: v_dual_lshlrev_b32 v6, 2, v6
	ds_bpermute_b32 v8, v6, v5
	s_wait_dscnt 0x0
	v_dual_lshlrev_b32 v7, 2, v7 :: v_dual_add_f32 v5, v5, v8
	v_xor_b32_e32 v8, 4, v2
	ds_bpermute_b32 v9, v7, v5
	v_cmp_gt_i32_e32 vcc_lo, 64, v8
	s_wait_dscnt 0x0
	v_dual_cndmask_b32 v8, v2, v8 :: v_dual_add_f32 v5, v5, v9
	s_delay_alu instid0(VALU_DEP_1)
	v_dual_lshlrev_b32 v8, 2, v8 :: v_dual_bitop2_b32 v9, 2, v2 bitop3:0x14
	ds_bpermute_b32 v10, v8, v5
	v_cmp_gt_i32_e32 vcc_lo, 64, v9
	v_cndmask_b32_e32 v9, v2, v9, vcc_lo
	v_cmp_gt_i32_e32 vcc_lo, 64, v11
	s_wait_dscnt 0x0
	s_delay_alu instid0(VALU_DEP_2) | instskip(SKIP_4) | instid1(VALU_DEP_2)
	v_dual_add_f32 v5, v5, v10 :: v_dual_lshlrev_b32 v9, 2, v9
	ds_bpermute_b32 v10, v9, v5
	v_dual_cndmask_b32 v2, v2, v11 :: v_dual_lshrrev_b32 v11, 4, v0
	s_wait_dscnt 0x0
	v_add_f32_e32 v5, v5, v10
	v_dual_lshlrev_b32 v10, 2, v2 :: v_dual_bitop2_b32 v2, 63, v0 bitop3:0x40
	ds_bpermute_b32 v12, v10, v5
	v_cmp_eq_u32_e64 s3, 0, v2
	s_and_saveexec_b32 s4, s3
	s_cbranch_execz .LBB11_6
; %bb.5:
	s_wait_dscnt 0x0
	v_add_f32_e32 v5, v5, v12
	ds_store_b32 v11, v5
.LBB11_6:
	s_or_b32 exec_lo, exec_lo, s4
	s_wait_dscnt 0x0
	s_barrier_signal -1
	s_barrier_wait -1
	s_load_b32 s7, s[0:1], 0x3c
	v_dual_mov_b32 v5, 0 :: v_dual_lshlrev_b32 v12, 2, v2
	s_wait_kmcnt 0x0
	s_bfe_u32 s4, s7, 0xa0006
	s_delay_alu instid0(SALU_CYCLE_1)
	v_cmp_gt_u32_e64 s4, s4, v0
	s_and_saveexec_b32 s5, s4
; %bb.7:
	ds_load_b32 v5, v12
; %bb.8:
	s_or_b32 exec_lo, exec_lo, s5
	s_wait_dscnt 0x0
	ds_bpermute_b32 v2, v1, v5
	v_cmp_eq_u32_e64 s5, 0, v0
	s_cvt_f32_i32 s6, s11
	s_wait_dscnt 0x0
	v_add_f32_e32 v2, v5, v2
	ds_bpermute_b32 v5, v6, v2
	s_wait_dscnt 0x0
	v_add_f32_e32 v2, v2, v5
	ds_bpermute_b32 v5, v7, v2
	;; [unrolled: 3-line block ×5, first 2 shown]
	s_and_saveexec_b32 s12, s5
	s_cbranch_execz .LBB11_10
; %bb.9:
	s_wait_dscnt 0x0
	v_add_f32_e32 v2, v2, v5
	s_delay_alu instid0(VALU_DEP_1) | instskip(SKIP_1) | instid1(VALU_DEP_2)
	v_div_scale_f32 v5, null, s6, s6, v2
	v_div_scale_f32 v15, vcc_lo, v2, s6, v2
	v_rcp_f32_e32 v13, v5
	v_nop
	s_delay_alu instid0(TRANS32_DEP_1) | instskip(NEXT) | instid1(VALU_DEP_1)
	v_fma_f32 v14, -v5, v13, 1.0
	v_fmac_f32_e32 v13, v14, v13
	s_delay_alu instid0(VALU_DEP_1) | instskip(NEXT) | instid1(VALU_DEP_1)
	v_mul_f32_e32 v14, v15, v13
	v_fma_f32 v16, -v5, v14, v15
	s_delay_alu instid0(VALU_DEP_1) | instskip(NEXT) | instid1(VALU_DEP_1)
	v_fmac_f32_e32 v14, v16, v13
	v_fma_f32 v5, -v5, v14, v15
	s_delay_alu instid0(VALU_DEP_1) | instskip(NEXT) | instid1(VALU_DEP_1)
	v_div_fmas_f32 v5, v5, v13, v14
	v_div_fixup_f32 v2, v5, s6, v2
	v_mov_b32_e32 v5, 0
	ds_store_b32 v5, v2 offset:68
.LBB11_10:
	s_or_b32 exec_lo, exec_lo, s12
	s_and_b32 s12, 0xffff, s7
	s_wait_dscnt 0x0
	v_dual_mov_b32 v5, 0 :: v_dual_add_nc_u32 v2, s12, v0
	s_barrier_signal -1
	s_barrier_wait -1
	s_and_saveexec_b32 s7, s2
	s_cbranch_execz .LBB11_12
; %bb.11:
	v_mov_b32_e32 v5, 0
	v_cmp_gt_u32_e32 vcc_lo, s11, v2
	ds_load_b32 v14, v5 offset:68
	v_mov_b32_e32 v5, v3
	s_wait_dscnt 0x0
	s_delay_alu instid0(VALU_DEP_1) | instskip(NEXT) | instid1(VALU_DEP_1)
	v_pk_add_f32 v[14:15], v[4:5], v[14:15] op_sel_hi:[1,0] neg_lo:[0,1] neg_hi:[0,1]
	v_pk_mul_f32 v[14:15], v[14:15], v[14:15]
	s_delay_alu instid0(VALU_DEP_1) | instskip(NEXT) | instid1(VALU_DEP_1)
	v_add_f32_e32 v5, v14, v15
	v_cndmask_b32_e32 v5, v14, v5, vcc_lo
.LBB11_12:
	s_or_b32 exec_lo, exec_lo, s7
	ds_bpermute_b32 v13, v1, v5
	s_wait_dscnt 0x0
	v_add_f32_e32 v5, v5, v13
	ds_bpermute_b32 v13, v6, v5
	s_wait_dscnt 0x0
	v_add_f32_e32 v5, v5, v13
	;; [unrolled: 3-line block ×5, first 2 shown]
	ds_bpermute_b32 v13, v10, v5
	s_and_saveexec_b32 s7, s3
	s_cbranch_execz .LBB11_14
; %bb.13:
	s_wait_dscnt 0x0
	v_add_f32_e32 v5, v5, v13
	ds_store_b32 v11, v5
.LBB11_14:
	s_or_b32 exec_lo, exec_lo, s7
	v_mov_b32_e32 v5, 0
	s_wait_dscnt 0x0
	s_barrier_signal -1
	s_barrier_wait -1
	s_and_saveexec_b32 s3, s4
; %bb.15:
	ds_load_b32 v5, v12
; %bb.16:
	s_or_b32 exec_lo, exec_lo, s3
	s_wait_dscnt 0x0
	ds_bpermute_b32 v1, v1, v5
	s_wait_dscnt 0x0
	v_add_f32_e32 v1, v5, v1
	ds_bpermute_b32 v5, v6, v1
	s_wait_dscnt 0x0
	v_add_f32_e32 v1, v1, v5
	;; [unrolled: 3-line block ×5, first 2 shown]
	ds_bpermute_b32 v5, v10, v1
	s_and_saveexec_b32 s3, s5
	s_cbranch_execz .LBB11_18
; %bb.17:
	s_wait_dscnt 0x0
	v_add_f32_e32 v1, v1, v5
	s_delay_alu instid0(VALU_DEP_1) | instskip(NEXT) | instid1(VALU_DEP_1)
	v_div_scale_f32 v5, null, s6, s6, v1
	v_rcp_f32_e32 v6, v5
	v_nop
	s_delay_alu instid0(TRANS32_DEP_1) | instskip(NEXT) | instid1(VALU_DEP_1)
	v_fma_f32 v7, -v5, v6, 1.0
	v_fmac_f32_e32 v6, v7, v6
	v_div_scale_f32 v8, vcc_lo, v1, s6, v1
	s_delay_alu instid0(VALU_DEP_1) | instskip(NEXT) | instid1(VALU_DEP_1)
	v_mul_f32_e32 v7, v8, v6
	v_fma_f32 v9, -v5, v7, v8
	s_delay_alu instid0(VALU_DEP_1) | instskip(NEXT) | instid1(VALU_DEP_1)
	v_fmac_f32_e32 v7, v9, v6
	v_fma_f32 v5, -v5, v7, v8
	s_delay_alu instid0(VALU_DEP_1) | instskip(NEXT) | instid1(VALU_DEP_1)
	v_div_fmas_f32 v5, v5, v6, v7
	v_div_fixup_f32 v1, v5, s6, v1
	s_delay_alu instid0(VALU_DEP_1)
	v_dual_mov_b32 v5, 0 :: v_dual_add_f32 v1, s10, v1
	ds_store_b32 v5, v1 offset:64
.LBB11_18:
	s_or_b32 exec_lo, exec_lo, s3
	s_wait_dscnt 0x0
	s_barrier_signal -1
	s_barrier_wait -1
	s_and_saveexec_b32 s3, s2
	s_cbranch_execz .LBB11_21
; %bb.19:
	s_load_b128 s[4:7], s[0:1], 0x18
	v_mov_b32_e32 v1, 0
	v_cmp_gt_u32_e32 vcc_lo, s11, v2
	s_wait_kmcnt 0x0
	s_clause 0x1
	global_load_u16 v5, v0, s[4:5] scale_offset
	global_load_u16 v8, v0, s[6:7] scale_offset
	ds_load_b64 v[6:7], v1 offset:64
	s_wait_dscnt 0x0
	v_readfirstlane_b32 s0, v6
	v_sub_f32_e32 v4, v4, v7
	s_cmp_lt_f32 s0, 0x800000
	s_mul_f32 s1, s0, 0x4b800000
	s_delay_alu instid0(SALU_CYCLE_3) | instskip(NEXT) | instid1(SALU_CYCLE_1)
	s_cselect_b32 s0, s1, s0
	v_s_rsq_f32 s0, s0
	s_delay_alu instid0(TRANS32_DEP_1) | instskip(NEXT) | instid1(SALU_CYCLE_3)
	s_mul_f32 s1, s0, 0x45800000
	s_cselect_b32 s2, s1, s0
	s_bfe_u32 s0, ttmp6, 0x4000c
	s_and_b32 s1, ttmp6, 15
	s_add_co_i32 s0, s0, 1
	v_mul_f32_e32 v4, s2, v4
	s_mul_i32 s0, ttmp9, s0
	s_delay_alu instid0(SALU_CYCLE_1)
	s_add_co_i32 s1, s1, s0
	s_cmp_eq_u32 s14, 0
	s_cselect_b32 s0, ttmp9, s1
	s_mov_b32 s1, 0
	s_mul_i32 s3, s11, s0
	s_wait_loadcnt 0x0
	v_fma_mixlo_f16 v4, v4, v5, v8 op_sel_hi:[0,1,1]
	v_add_nc_u32_e32 v5, s3, v0
	global_store_b16 v5, v4, s[8:9] scale_offset
	s_wait_xcnt 0x0
	s_and_b32 exec_lo, exec_lo, vcc_lo
	s_cbranch_execz .LBB11_21
; %bb.20:
	v_lshlrev_b32_e32 v0, 1, v0
	s_lshl_b32 s0, s12, 1
	s_delay_alu instid0(VALU_DEP_1) | instskip(SKIP_1) | instid1(VALU_DEP_2)
	v_add_nc_u64_e32 v[4:5], s[4:5], v[0:1]
	v_add_nc_u64_e32 v[0:1], s[6:7], v[0:1]
	;; [unrolled: 1-line block ×3, first 2 shown]
	s_delay_alu instid0(VALU_DEP_2) | instskip(SKIP_4) | instid1(VALU_DEP_1)
	v_add_nc_u64_e32 v[0:1], s[0:1], v[0:1]
	global_load_u16 v6, v[4:5], off
	global_load_u16 v8, v[0:1], off
	s_wait_xcnt 0x0
	v_dual_sub_f32 v0, v3, v7 :: v_dual_add_nc_u32 v1, s3, v2
	v_mul_f32_e32 v0, s2, v0
	s_wait_loadcnt 0x0
	s_delay_alu instid0(VALU_DEP_1)
	v_fma_mixlo_f16 v0, v0, v6, v8 op_sel_hi:[0,1,1]
	global_store_b16 v1, v0, s[8:9] scale_offset
.LBB11_21:
	s_endpgm
	.section	.rodata,"a",@progbits
	.p2align	6, 0x0
	.amdhsa_kernel _Z28addBiasResidualPostLayerNormI6__halfLi2ELi64EEvPT_PKS1_S4_S4_S4_fi
		.amdhsa_group_segment_fixed_size 72
		.amdhsa_private_segment_fixed_size 0
		.amdhsa_kernarg_size 304
		.amdhsa_user_sgpr_count 2
		.amdhsa_user_sgpr_dispatch_ptr 0
		.amdhsa_user_sgpr_queue_ptr 0
		.amdhsa_user_sgpr_kernarg_segment_ptr 1
		.amdhsa_user_sgpr_dispatch_id 0
		.amdhsa_user_sgpr_kernarg_preload_length 0
		.amdhsa_user_sgpr_kernarg_preload_offset 0
		.amdhsa_user_sgpr_private_segment_size 0
		.amdhsa_wavefront_size32 1
		.amdhsa_uses_dynamic_stack 0
		.amdhsa_enable_private_segment 0
		.amdhsa_system_sgpr_workgroup_id_x 1
		.amdhsa_system_sgpr_workgroup_id_y 0
		.amdhsa_system_sgpr_workgroup_id_z 0
		.amdhsa_system_sgpr_workgroup_info 0
		.amdhsa_system_vgpr_workitem_id 0
		.amdhsa_next_free_vgpr 17
		.amdhsa_next_free_sgpr 17
		.amdhsa_named_barrier_count 0
		.amdhsa_reserve_vcc 1
		.amdhsa_float_round_mode_32 0
		.amdhsa_float_round_mode_16_64 0
		.amdhsa_float_denorm_mode_32 3
		.amdhsa_float_denorm_mode_16_64 3
		.amdhsa_fp16_overflow 0
		.amdhsa_memory_ordered 1
		.amdhsa_forward_progress 1
		.amdhsa_inst_pref_size 14
		.amdhsa_round_robin_scheduling 0
		.amdhsa_exception_fp_ieee_invalid_op 0
		.amdhsa_exception_fp_denorm_src 0
		.amdhsa_exception_fp_ieee_div_zero 0
		.amdhsa_exception_fp_ieee_overflow 0
		.amdhsa_exception_fp_ieee_underflow 0
		.amdhsa_exception_fp_ieee_inexact 0
		.amdhsa_exception_int_div_zero 0
	.end_amdhsa_kernel
	.section	.text._Z28addBiasResidualPostLayerNormI6__halfLi2ELi64EEvPT_PKS1_S4_S4_S4_fi,"axG",@progbits,_Z28addBiasResidualPostLayerNormI6__halfLi2ELi64EEvPT_PKS1_S4_S4_S4_fi,comdat
.Lfunc_end11:
	.size	_Z28addBiasResidualPostLayerNormI6__halfLi2ELi64EEvPT_PKS1_S4_S4_S4_fi, .Lfunc_end11-_Z28addBiasResidualPostLayerNormI6__halfLi2ELi64EEvPT_PKS1_S4_S4_S4_fi
                                        ; -- End function
	.set _Z28addBiasResidualPostLayerNormI6__halfLi2ELi64EEvPT_PKS1_S4_S4_S4_fi.num_vgpr, 17
	.set _Z28addBiasResidualPostLayerNormI6__halfLi2ELi64EEvPT_PKS1_S4_S4_S4_fi.num_agpr, 0
	.set _Z28addBiasResidualPostLayerNormI6__halfLi2ELi64EEvPT_PKS1_S4_S4_S4_fi.numbered_sgpr, 17
	.set _Z28addBiasResidualPostLayerNormI6__halfLi2ELi64EEvPT_PKS1_S4_S4_S4_fi.num_named_barrier, 0
	.set _Z28addBiasResidualPostLayerNormI6__halfLi2ELi64EEvPT_PKS1_S4_S4_S4_fi.private_seg_size, 0
	.set _Z28addBiasResidualPostLayerNormI6__halfLi2ELi64EEvPT_PKS1_S4_S4_S4_fi.uses_vcc, 1
	.set _Z28addBiasResidualPostLayerNormI6__halfLi2ELi64EEvPT_PKS1_S4_S4_S4_fi.uses_flat_scratch, 0
	.set _Z28addBiasResidualPostLayerNormI6__halfLi2ELi64EEvPT_PKS1_S4_S4_S4_fi.has_dyn_sized_stack, 0
	.set _Z28addBiasResidualPostLayerNormI6__halfLi2ELi64EEvPT_PKS1_S4_S4_S4_fi.has_recursion, 0
	.set _Z28addBiasResidualPostLayerNormI6__halfLi2ELi64EEvPT_PKS1_S4_S4_S4_fi.has_indirect_call, 0
	.section	.AMDGPU.csdata,"",@progbits
; Kernel info:
; codeLenInByte = 1720
; TotalNumSgprs: 19
; NumVgprs: 17
; ScratchSize: 0
; MemoryBound: 0
; FloatMode: 240
; IeeeMode: 1
; LDSByteSize: 72 bytes/workgroup (compile time only)
; SGPRBlocks: 0
; VGPRBlocks: 1
; NumSGPRsForWavesPerEU: 19
; NumVGPRsForWavesPerEU: 17
; NamedBarCnt: 0
; Occupancy: 16
; WaveLimiterHint : 0
; COMPUTE_PGM_RSRC2:SCRATCH_EN: 0
; COMPUTE_PGM_RSRC2:USER_SGPR: 2
; COMPUTE_PGM_RSRC2:TRAP_HANDLER: 0
; COMPUTE_PGM_RSRC2:TGID_X_EN: 1
; COMPUTE_PGM_RSRC2:TGID_Y_EN: 0
; COMPUTE_PGM_RSRC2:TGID_Z_EN: 0
; COMPUTE_PGM_RSRC2:TIDIG_COMP_CNT: 0
	.section	.text._Z35generalAddBiasResidualPostLayerNormI6__halfLi64EEvPT_PKS1_S4_S4_S4_fi,"axG",@progbits,_Z35generalAddBiasResidualPostLayerNormI6__halfLi64EEvPT_PKS1_S4_S4_S4_fi,comdat
	.protected	_Z35generalAddBiasResidualPostLayerNormI6__halfLi64EEvPT_PKS1_S4_S4_S4_fi ; -- Begin function _Z35generalAddBiasResidualPostLayerNormI6__halfLi64EEvPT_PKS1_S4_S4_S4_fi
	.globl	_Z35generalAddBiasResidualPostLayerNormI6__halfLi64EEvPT_PKS1_S4_S4_S4_fi
	.p2align	8
	.type	_Z35generalAddBiasResidualPostLayerNormI6__halfLi64EEvPT_PKS1_S4_S4_S4_fi,@function
_Z35generalAddBiasResidualPostLayerNormI6__halfLi64EEvPT_PKS1_S4_S4_S4_fi: ; @_Z35generalAddBiasResidualPostLayerNormI6__halfLi64EEvPT_PKS1_S4_S4_S4_fi
; %bb.0:
	s_clause 0x1
	s_load_b64 s[10:11], s[0:1], 0x28
	s_load_b64 s[8:9], s[0:1], 0x0
	v_dual_mov_b32 v3, 0 :: v_dual_lshlrev_b32 v2, 2, v0
	s_getreg_b32 s15, hwreg(HW_REG_IB_STS2, 6, 4)
	s_wait_kmcnt 0x0
	s_lshr_b32 s2, s11, 31
	s_delay_alu instid0(SALU_CYCLE_1) | instskip(NEXT) | instid1(SALU_CYCLE_1)
	s_add_co_i32 s2, s11, s2
	s_ashr_i32 s14, s2, 1
	s_delay_alu instid0(SALU_CYCLE_1)
	v_cmp_gt_i32_e64 s2, s14, v0
	s_and_saveexec_b32 s3, s2
	s_cbranch_execz .LBB12_4
; %bb.1:
	s_clause 0x1
	s_load_b128 s[4:7], s[0:1], 0x8
	s_load_b32 s12, s[0:1], 0x3c
	s_bfe_u32 s13, ttmp6, 0x4000c
	v_dual_mov_b32 v3, 0 :: v_dual_mov_b32 v1, v0
	s_add_co_i32 s13, s13, 1
	s_and_b32 s16, ttmp6, 15
	s_mul_i32 s13, ttmp9, s13
	s_delay_alu instid0(SALU_CYCLE_1) | instskip(SKIP_3) | instid1(SALU_CYCLE_1)
	s_add_co_i32 s16, s16, s13
	s_cmp_eq_u32 s15, 0
	s_mov_b32 s13, 0
	s_cselect_b32 s16, ttmp9, s16
	s_mul_i32 s16, s11, s16
	s_wait_kmcnt 0x0
	v_add_nc_u64_e32 v[4:5], s[6:7], v[2:3]
	s_and_b32 s6, s12, 0xffff
	s_lshr_b32 s7, s16, 1
	s_lshl_b32 s12, s6, 2
	s_mov_b32 s16, s13
.LBB12_2:                               ; =>This Inner Loop Header: Depth=1
	v_add_nc_u32_e32 v6, s7, v1
	s_clause 0x1
	global_load_b32 v7, v6, s[8:9] scale_offset
	global_load_b32 v8, v6, s[4:5] scale_offset
	global_load_b32 v9, v[4:5], off
	s_wait_xcnt 0x0
	v_add_nc_u64_e32 v[4:5], s[12:13], v[4:5]
	s_wait_loadcnt 0x1
	v_pk_add_f16 v7, v7, v8
	s_wait_loadcnt 0x0
	s_delay_alu instid0(VALU_DEP_1) | instskip(NEXT) | instid1(VALU_DEP_1)
	v_pk_add_f16 v7, v7, v9
	v_lshrrev_b32_e32 v8, 16, v7
	v_cvt_f32_f16_e32 v9, v7
	global_store_b32 v6, v7, s[8:9] scale_offset
	v_cvt_f32_f16_e32 v8, v8
	v_add_f32_e32 v3, v3, v9
	s_delay_alu instid0(VALU_DEP_1) | instskip(NEXT) | instid1(VALU_DEP_1)
	v_dual_add_nc_u32 v1, s6, v1 :: v_dual_add_f32 v3, v3, v8
	v_cmp_le_i32_e32 vcc_lo, s14, v1
	s_or_b32 s16, vcc_lo, s16
	s_wait_xcnt 0x0
	s_and_not1_b32 exec_lo, exec_lo, s16
	s_cbranch_execnz .LBB12_2
; %bb.3:
	s_or_b32 exec_lo, exec_lo, s16
.LBB12_4:
	s_delay_alu instid0(SALU_CYCLE_1) | instskip(SKIP_2) | instid1(VALU_DEP_1)
	s_or_b32 exec_lo, exec_lo, s3
	v_mbcnt_lo_u32_b32 v4, -1, 0
	s_load_b128 s[4:7], s[0:1], 0x18
	v_xor_b32_e32 v6, 16, v4
	v_or_b32_e32 v1, 32, v4
	s_delay_alu instid0(VALU_DEP_1) | instskip(SKIP_1) | instid1(VALU_DEP_4)
	v_cmp_gt_i32_e32 vcc_lo, 64, v1
	v_cndmask_b32_e32 v1, v4, v1, vcc_lo
	v_cmp_gt_i32_e32 vcc_lo, 64, v6
	v_cndmask_b32_e32 v6, v4, v6, vcc_lo
	s_delay_alu instid0(VALU_DEP_1)
	v_dual_lshlrev_b32 v6, 2, v6 :: v_dual_lshlrev_b32 v1, 2, v1
	ds_bpermute_b32 v5, v1, v3
	s_wait_dscnt 0x0
	v_dual_add_f32 v5, v3, v5 :: v_dual_bitop2_b32 v3, 8, v4 bitop3:0x14
	ds_bpermute_b32 v7, v6, v5
	v_cmp_gt_i32_e32 vcc_lo, 64, v3
	v_cndmask_b32_e32 v3, v4, v3, vcc_lo
	s_wait_dscnt 0x0
	v_dual_add_f32 v5, v5, v7 :: v_dual_bitop2_b32 v7, 4, v4 bitop3:0x14
	s_delay_alu instid0(VALU_DEP_1) | instskip(SKIP_2) | instid1(VALU_DEP_2)
	v_cmp_gt_i32_e32 vcc_lo, 64, v7
	v_cndmask_b32_e32 v7, v4, v7, vcc_lo
	v_lshlrev_b32_e32 v3, 2, v3
	v_lshlrev_b32_e32 v7, 2, v7
	ds_bpermute_b32 v8, v3, v5
	s_wait_dscnt 0x0
	v_add_f32_e32 v5, v5, v8
	v_xor_b32_e32 v8, 2, v4
	ds_bpermute_b32 v9, v7, v5
	v_cmp_gt_i32_e32 vcc_lo, 64, v8
	s_wait_dscnt 0x0
	v_dual_cndmask_b32 v8, v4, v8 :: v_dual_add_f32 v5, v5, v9
	v_xor_b32_e32 v10, 1, v4
	s_delay_alu instid0(VALU_DEP_1) | instskip(NEXT) | instid1(VALU_DEP_3)
	v_cmp_gt_i32_e32 vcc_lo, 64, v10
	v_dual_lshlrev_b32 v8, 2, v8 :: v_dual_cndmask_b32 v4, v4, v10, vcc_lo
	ds_bpermute_b32 v9, v8, v5
	s_wait_dscnt 0x0
	v_dual_add_f32 v5, v5, v9 :: v_dual_lshrrev_b32 v10, 4, v0
	v_lshlrev_b32_e32 v9, 2, v4
	v_and_b32_e32 v4, 63, v0
	ds_bpermute_b32 v11, v9, v5
	v_cmp_eq_u32_e64 s3, 0, v4
	s_and_saveexec_b32 s12, s3
	s_cbranch_execz .LBB12_6
; %bb.5:
	s_wait_dscnt 0x0
	v_add_f32_e32 v5, v5, v11
	ds_store_b32 v10, v5
.LBB12_6:
	s_or_b32 exec_lo, exec_lo, s12
	s_wait_storecnt_dscnt 0x0
	s_barrier_signal -1
	s_barrier_wait -1
	s_load_b32 s12, s[0:1], 0x3c
	v_dual_mov_b32 v5, 0 :: v_dual_lshlrev_b32 v11, 2, v4
	s_wait_kmcnt 0x0
	s_bfe_u32 s0, s12, 0xa0006
	s_delay_alu instid0(SALU_CYCLE_1)
	v_cmp_gt_u32_e64 s0, s0, v0
	s_and_saveexec_b32 s1, s0
; %bb.7:
	ds_load_b32 v5, v11
; %bb.8:
	s_or_b32 exec_lo, exec_lo, s1
	s_wait_dscnt 0x0
	ds_bpermute_b32 v4, v1, v5
	v_cmp_eq_u32_e64 s1, 0, v0
	s_cvt_f32_i32 s13, s11
	s_wait_dscnt 0x0
	v_add_f32_e32 v4, v5, v4
	ds_bpermute_b32 v5, v6, v4
	s_wait_dscnt 0x0
	v_add_f32_e32 v4, v4, v5
	ds_bpermute_b32 v5, v3, v4
	;; [unrolled: 3-line block ×5, first 2 shown]
	s_and_saveexec_b32 s16, s1
	s_cbranch_execz .LBB12_10
; %bb.9:
	s_wait_dscnt 0x0
	v_add_f32_e32 v4, v4, v5
	s_delay_alu instid0(VALU_DEP_1) | instskip(NEXT) | instid1(VALU_DEP_1)
	v_div_scale_f32 v5, null, s13, s13, v4
	v_rcp_f32_e32 v12, v5
	v_nop
	s_delay_alu instid0(TRANS32_DEP_1) | instskip(NEXT) | instid1(VALU_DEP_1)
	v_fma_f32 v13, -v5, v12, 1.0
	v_fmac_f32_e32 v12, v13, v12
	v_div_scale_f32 v14, vcc_lo, v4, s13, v4
	s_delay_alu instid0(VALU_DEP_1) | instskip(NEXT) | instid1(VALU_DEP_1)
	v_mul_f32_e32 v13, v14, v12
	v_fma_f32 v15, -v5, v13, v14
	s_delay_alu instid0(VALU_DEP_1) | instskip(NEXT) | instid1(VALU_DEP_1)
	v_fmac_f32_e32 v13, v15, v12
	v_fma_f32 v5, -v5, v13, v14
	s_delay_alu instid0(VALU_DEP_1) | instskip(NEXT) | instid1(VALU_DEP_1)
	v_div_fmas_f32 v5, v5, v12, v13
	v_div_fixup_f32 v4, v5, s13, v4
	v_mov_b32_e32 v5, 0
	ds_store_b32 v5, v4 offset:68
.LBB12_10:
	s_or_b32 exec_lo, exec_lo, s16
	s_bfe_u32 s16, ttmp6, 0x4000c
	s_and_b32 s17, ttmp6, 15
	s_add_co_i32 s16, s16, 1
	v_mov_b32_e32 v12, 0
	s_mul_i32 s16, ttmp9, s16
	s_wait_dscnt 0x0
	s_add_co_i32 s17, s17, s16
	s_cmp_eq_u32 s15, 0
	s_barrier_signal -1
	s_cselect_b32 s15, ttmp9, s17
	s_and_b32 s12, 0xffff, s12
	s_mul_i32 s11, s11, s15
	s_barrier_wait -1
	s_and_saveexec_b32 s15, s2
	s_cbranch_execz .LBB12_14
; %bb.11:
	v_dual_mov_b32 v12, 0 :: v_dual_mov_b32 v13, v0
	s_lshr_b32 s17, s11, 1
	s_mov_b32 s16, 0
	ds_load_b32 v4, v12 offset:68
	s_wait_dscnt 0x0
	v_mov_b32_e32 v5, v4
.LBB12_12:                              ; =>This Inner Loop Header: Depth=1
	v_dual_add_nc_u32 v14, s17, v13 :: v_dual_add_nc_u32 v13, s12, v13
	global_load_b32 v14, v14, s[8:9] scale_offset
	v_cmp_le_i32_e32 vcc_lo, s14, v13
	s_or_b32 s16, vcc_lo, s16
	s_wait_loadcnt 0x0
	v_lshrrev_b32_e32 v15, 16, v14
	v_cvt_f32_f16_e32 v14, v14
	s_delay_alu instid0(VALU_DEP_2) | instskip(NEXT) | instid1(VALU_DEP_1)
	v_cvt_f32_f16_e32 v15, v15
	v_pk_add_f32 v[14:15], v[14:15], v[4:5] neg_lo:[0,1] neg_hi:[0,1]
	s_delay_alu instid0(VALU_DEP_1) | instskip(NEXT) | instid1(VALU_DEP_1)
	v_pk_mul_f32 v[14:15], v[14:15], v[14:15]
	v_add_f32_e32 v12, v12, v14
	s_delay_alu instid0(VALU_DEP_1)
	v_add_f32_e32 v12, v12, v15
	s_and_not1_b32 exec_lo, exec_lo, s16
	s_cbranch_execnz .LBB12_12
; %bb.13:
	s_or_b32 exec_lo, exec_lo, s16
.LBB12_14:
	s_delay_alu instid0(SALU_CYCLE_1)
	s_or_b32 exec_lo, exec_lo, s15
	ds_bpermute_b32 v4, v1, v12
	s_wait_dscnt 0x0
	v_add_f32_e32 v4, v12, v4
	ds_bpermute_b32 v5, v6, v4
	s_wait_dscnt 0x0
	v_add_f32_e32 v4, v4, v5
	;; [unrolled: 3-line block ×5, first 2 shown]
	ds_bpermute_b32 v5, v9, v4
	s_and_saveexec_b32 s15, s3
	s_cbranch_execz .LBB12_16
; %bb.15:
	s_wait_dscnt 0x0
	v_add_f32_e32 v4, v4, v5
	ds_store_b32 v10, v4
.LBB12_16:
	s_or_b32 exec_lo, exec_lo, s15
	v_mov_b32_e32 v4, 0
	s_wait_dscnt 0x0
	s_barrier_signal -1
	s_barrier_wait -1
	s_and_saveexec_b32 s3, s0
; %bb.17:
	ds_load_b32 v4, v11
; %bb.18:
	s_or_b32 exec_lo, exec_lo, s3
	s_wait_dscnt 0x0
	ds_bpermute_b32 v1, v1, v4
	s_wait_dscnt 0x0
	v_add_f32_e32 v1, v4, v1
	ds_bpermute_b32 v4, v6, v1
	s_wait_dscnt 0x0
	v_add_f32_e32 v1, v1, v4
	;; [unrolled: 3-line block ×5, first 2 shown]
	ds_bpermute_b32 v3, v9, v1
	s_and_saveexec_b32 s0, s1
	s_cbranch_execz .LBB12_20
; %bb.19:
	s_wait_dscnt 0x0
	v_add_f32_e32 v1, v1, v3
	s_delay_alu instid0(VALU_DEP_1) | instskip(SKIP_1) | instid1(VALU_DEP_2)
	v_div_scale_f32 v3, null, s13, s13, v1
	v_div_scale_f32 v6, vcc_lo, v1, s13, v1
	v_rcp_f32_e32 v4, v3
	v_nop
	s_delay_alu instid0(TRANS32_DEP_1) | instskip(NEXT) | instid1(VALU_DEP_1)
	v_fma_f32 v5, -v3, v4, 1.0
	v_fmac_f32_e32 v4, v5, v4
	s_delay_alu instid0(VALU_DEP_1) | instskip(NEXT) | instid1(VALU_DEP_1)
	v_mul_f32_e32 v5, v6, v4
	v_fma_f32 v7, -v3, v5, v6
	s_delay_alu instid0(VALU_DEP_1) | instskip(NEXT) | instid1(VALU_DEP_1)
	v_fmac_f32_e32 v5, v7, v4
	v_fma_f32 v3, -v3, v5, v6
	s_delay_alu instid0(VALU_DEP_1) | instskip(NEXT) | instid1(VALU_DEP_1)
	v_div_fmas_f32 v3, v3, v4, v5
	v_div_fixup_f32 v1, v3, s13, v1
	s_delay_alu instid0(VALU_DEP_1) | instskip(NEXT) | instid1(VALU_DEP_1)
	v_add_f32_e32 v1, s10, v1
	v_mul_f32_e32 v3, 0x4b800000, v1
	v_cmp_gt_f32_e32 vcc_lo, 0x800000, v1
	s_delay_alu instid0(VALU_DEP_2) | instskip(NEXT) | instid1(VALU_DEP_1)
	v_cndmask_b32_e32 v1, v1, v3, vcc_lo
	v_rsq_f32_e32 v1, v1
	v_nop
	s_delay_alu instid0(TRANS32_DEP_1) | instskip(NEXT) | instid1(VALU_DEP_1)
	v_mul_f32_e32 v3, 0x45800000, v1
	v_dual_cndmask_b32 v1, v1, v3, vcc_lo :: v_dual_mov_b32 v3, 0
	ds_store_b32 v3, v1 offset:64
.LBB12_20:
	s_or_b32 exec_lo, exec_lo, s0
	s_wait_dscnt 0x0
	s_barrier_signal -1
	s_barrier_wait -1
	s_and_saveexec_b32 s0, s2
	s_cbranch_execz .LBB12_23
; %bb.21:
	v_mov_b32_e32 v3, 0
	s_mov_b32 s1, 0
	s_lshr_b32 s2, s11, 1
	s_lshl_b32 s0, s12, 2
	s_mov_b32 s3, s1
	ds_load_b64 v[4:5], v3 offset:64
	s_wait_dscnt 0x0
	v_dual_mov_b32 v6, v5 :: v_dual_mov_b32 v7, v5
	v_mov_b32_e32 v5, v4
.LBB12_22:                              ; =>This Inner Loop Header: Depth=1
	v_add_nc_u32_e32 v1, s2, v0
	v_add_nc_u64_e32 v[8:9], s[4:5], v[2:3]
	v_add_nc_u64_e32 v[10:11], s[6:7], v[2:3]
	v_add_nc_u32_e32 v0, s12, v0
	v_add_nc_u64_e32 v[2:3], s[0:1], v[2:3]
	global_load_b32 v12, v1, s[8:9] scale_offset
	global_load_b32 v13, v[8:9], off
	global_load_b32 v14, v[10:11], off
	v_cmp_le_i32_e32 vcc_lo, s14, v0
	s_or_b32 s3, vcc_lo, s3
	s_wait_loadcnt 0x2
	s_wait_xcnt 0x1
	v_lshrrev_b32_e32 v9, 16, v12
	v_cvt_f32_f16_e32 v8, v12
	s_wait_loadcnt 0x0
	s_wait_xcnt 0x0
	v_dual_lshrrev_b32 v11, 16, v13 :: v_dual_lshrrev_b32 v15, 16, v14
	v_cvt_f32_f16_e32 v10, v13
	v_cvt_f32_f16_e32 v9, v9
	;; [unrolled: 1-line block ×3, first 2 shown]
	s_delay_alu instid0(VALU_DEP_4) | instskip(SKIP_1) | instid1(VALU_DEP_4)
	v_cvt_f32_f16_e32 v11, v11
	v_cvt_f32_f16_e32 v13, v15
	v_pk_add_f32 v[8:9], v[8:9], v[6:7] neg_lo:[0,1] neg_hi:[0,1]
	s_delay_alu instid0(VALU_DEP_1) | instskip(NEXT) | instid1(VALU_DEP_1)
	v_pk_mul_f32 v[8:9], v[8:9], v[4:5]
	v_pk_fma_f32 v[8:9], v[8:9], v[10:11], v[12:13]
	s_delay_alu instid0(VALU_DEP_1)
	v_cvt_pk_f16_f32 v8, v8, v9
	global_store_b32 v1, v8, s[8:9] scale_offset
	s_wait_xcnt 0x0
	s_and_not1_b32 exec_lo, exec_lo, s3
	s_cbranch_execnz .LBB12_22
.LBB12_23:
	s_endpgm
	.section	.rodata,"a",@progbits
	.p2align	6, 0x0
	.amdhsa_kernel _Z35generalAddBiasResidualPostLayerNormI6__halfLi64EEvPT_PKS1_S4_S4_S4_fi
		.amdhsa_group_segment_fixed_size 72
		.amdhsa_private_segment_fixed_size 0
		.amdhsa_kernarg_size 304
		.amdhsa_user_sgpr_count 2
		.amdhsa_user_sgpr_dispatch_ptr 0
		.amdhsa_user_sgpr_queue_ptr 0
		.amdhsa_user_sgpr_kernarg_segment_ptr 1
		.amdhsa_user_sgpr_dispatch_id 0
		.amdhsa_user_sgpr_kernarg_preload_length 0
		.amdhsa_user_sgpr_kernarg_preload_offset 0
		.amdhsa_user_sgpr_private_segment_size 0
		.amdhsa_wavefront_size32 1
		.amdhsa_uses_dynamic_stack 0
		.amdhsa_enable_private_segment 0
		.amdhsa_system_sgpr_workgroup_id_x 1
		.amdhsa_system_sgpr_workgroup_id_y 0
		.amdhsa_system_sgpr_workgroup_id_z 0
		.amdhsa_system_sgpr_workgroup_info 0
		.amdhsa_system_vgpr_workitem_id 0
		.amdhsa_next_free_vgpr 16
		.amdhsa_next_free_sgpr 18
		.amdhsa_named_barrier_count 0
		.amdhsa_reserve_vcc 1
		.amdhsa_float_round_mode_32 0
		.amdhsa_float_round_mode_16_64 0
		.amdhsa_float_denorm_mode_32 3
		.amdhsa_float_denorm_mode_16_64 3
		.amdhsa_fp16_overflow 0
		.amdhsa_memory_ordered 1
		.amdhsa_forward_progress 1
		.amdhsa_inst_pref_size 15
		.amdhsa_round_robin_scheduling 0
		.amdhsa_exception_fp_ieee_invalid_op 0
		.amdhsa_exception_fp_denorm_src 0
		.amdhsa_exception_fp_ieee_div_zero 0
		.amdhsa_exception_fp_ieee_overflow 0
		.amdhsa_exception_fp_ieee_underflow 0
		.amdhsa_exception_fp_ieee_inexact 0
		.amdhsa_exception_int_div_zero 0
	.end_amdhsa_kernel
	.section	.text._Z35generalAddBiasResidualPostLayerNormI6__halfLi64EEvPT_PKS1_S4_S4_S4_fi,"axG",@progbits,_Z35generalAddBiasResidualPostLayerNormI6__halfLi64EEvPT_PKS1_S4_S4_S4_fi,comdat
.Lfunc_end12:
	.size	_Z35generalAddBiasResidualPostLayerNormI6__halfLi64EEvPT_PKS1_S4_S4_S4_fi, .Lfunc_end12-_Z35generalAddBiasResidualPostLayerNormI6__halfLi64EEvPT_PKS1_S4_S4_S4_fi
                                        ; -- End function
	.set _Z35generalAddBiasResidualPostLayerNormI6__halfLi64EEvPT_PKS1_S4_S4_S4_fi.num_vgpr, 16
	.set _Z35generalAddBiasResidualPostLayerNormI6__halfLi64EEvPT_PKS1_S4_S4_S4_fi.num_agpr, 0
	.set _Z35generalAddBiasResidualPostLayerNormI6__halfLi64EEvPT_PKS1_S4_S4_S4_fi.numbered_sgpr, 18
	.set _Z35generalAddBiasResidualPostLayerNormI6__halfLi64EEvPT_PKS1_S4_S4_S4_fi.num_named_barrier, 0
	.set _Z35generalAddBiasResidualPostLayerNormI6__halfLi64EEvPT_PKS1_S4_S4_S4_fi.private_seg_size, 0
	.set _Z35generalAddBiasResidualPostLayerNormI6__halfLi64EEvPT_PKS1_S4_S4_S4_fi.uses_vcc, 1
	.set _Z35generalAddBiasResidualPostLayerNormI6__halfLi64EEvPT_PKS1_S4_S4_S4_fi.uses_flat_scratch, 0
	.set _Z35generalAddBiasResidualPostLayerNormI6__halfLi64EEvPT_PKS1_S4_S4_S4_fi.has_dyn_sized_stack, 0
	.set _Z35generalAddBiasResidualPostLayerNormI6__halfLi64EEvPT_PKS1_S4_S4_S4_fi.has_recursion, 0
	.set _Z35generalAddBiasResidualPostLayerNormI6__halfLi64EEvPT_PKS1_S4_S4_S4_fi.has_indirect_call, 0
	.section	.AMDGPU.csdata,"",@progbits
; Kernel info:
; codeLenInByte = 1800
; TotalNumSgprs: 20
; NumVgprs: 16
; ScratchSize: 0
; MemoryBound: 0
; FloatMode: 240
; IeeeMode: 1
; LDSByteSize: 72 bytes/workgroup (compile time only)
; SGPRBlocks: 0
; VGPRBlocks: 0
; NumSGPRsForWavesPerEU: 20
; NumVGPRsForWavesPerEU: 16
; NamedBarCnt: 0
; Occupancy: 16
; WaveLimiterHint : 0
; COMPUTE_PGM_RSRC2:SCRATCH_EN: 0
; COMPUTE_PGM_RSRC2:USER_SGPR: 2
; COMPUTE_PGM_RSRC2:TRAP_HANDLER: 0
; COMPUTE_PGM_RSRC2:TGID_X_EN: 1
; COMPUTE_PGM_RSRC2:TGID_Y_EN: 0
; COMPUTE_PGM_RSRC2:TGID_Z_EN: 0
; COMPUTE_PGM_RSRC2:TIDIG_COMP_CNT: 0
	.section	.text._Z28addBiasResidualPostLayerNormI6__halfLi1ELi32EEvPT_PKS1_S4_S4_S4_fi,"axG",@progbits,_Z28addBiasResidualPostLayerNormI6__halfLi1ELi32EEvPT_PKS1_S4_S4_S4_fi,comdat
	.protected	_Z28addBiasResidualPostLayerNormI6__halfLi1ELi32EEvPT_PKS1_S4_S4_S4_fi ; -- Begin function _Z28addBiasResidualPostLayerNormI6__halfLi1ELi32EEvPT_PKS1_S4_S4_S4_fi
	.globl	_Z28addBiasResidualPostLayerNormI6__halfLi1ELi32EEvPT_PKS1_S4_S4_S4_fi
	.p2align	8
	.type	_Z28addBiasResidualPostLayerNormI6__halfLi1ELi32EEvPT_PKS1_S4_S4_S4_fi,@function
_Z28addBiasResidualPostLayerNormI6__halfLi1ELi32EEvPT_PKS1_S4_S4_S4_fi: ; @_Z28addBiasResidualPostLayerNormI6__halfLi1ELi32EEvPT_PKS1_S4_S4_S4_fi
; %bb.0:
	s_clause 0x1
	s_load_b64 s[8:9], s[0:1], 0x28
	s_load_b64 s[6:7], s[0:1], 0x0
	v_mov_b32_e32 v4, 0
	s_getreg_b32 s10, hwreg(HW_REG_IB_STS2, 6, 4)
                                        ; implicit-def: $vgpr1
	s_wait_kmcnt 0x0
	v_cmp_gt_i32_e64 s2, s9, v0
	s_and_saveexec_b32 s3, s2
	s_cbranch_execz .LBB13_2
; %bb.1:
	s_bfe_u32 s4, ttmp6, 0x4000c
	s_load_b128 s[12:15], s[0:1], 0x8
	s_add_co_i32 s4, s4, 1
	s_and_b32 s5, ttmp6, 15
	s_mul_i32 s4, ttmp9, s4
	s_delay_alu instid0(SALU_CYCLE_1) | instskip(SKIP_2) | instid1(SALU_CYCLE_1)
	s_add_co_i32 s5, s5, s4
	s_cmp_eq_u32 s10, 0
	s_cselect_b32 s4, ttmp9, s5
	v_mad_u32 v1, s9, s4, v0
	global_load_u16 v2, v1, s[6:7] scale_offset
	s_wait_kmcnt 0x0
	global_load_u16 v3, v1, s[12:13] scale_offset
	global_load_u16 v4, v0, s[14:15] scale_offset
	s_wait_loadcnt 0x1
	s_wait_xcnt 0x1
	v_add_f16_e32 v1, v2, v3
	s_wait_loadcnt 0x0
	s_delay_alu instid0(VALU_DEP_1) | instskip(NEXT) | instid1(VALU_DEP_1)
	v_add_f16_e32 v1, v1, v4
	v_cvt_f32_f16_e32 v1, v1
	s_delay_alu instid0(VALU_DEP_1)
	v_add_f32_e32 v4, 0, v1
.LBB13_2:
	s_or_b32 exec_lo, exec_lo, s3
	v_mbcnt_lo_u32_b32 v6, -1, 0
	s_delay_alu instid0(VALU_DEP_1) | instskip(SKIP_2) | instid1(VALU_DEP_2)
	v_xor_b32_e32 v3, 8, v6
	v_xor_b32_e32 v2, 16, v6
	;; [unrolled: 1-line block ×3, first 2 shown]
	v_cmp_gt_i32_e32 vcc_lo, 32, v2
	v_cndmask_b32_e32 v2, v6, v2, vcc_lo
	v_cmp_gt_i32_e32 vcc_lo, 32, v3
	v_cndmask_b32_e32 v3, v6, v3, vcc_lo
	s_delay_alu instid0(VALU_DEP_1)
	v_dual_lshlrev_b32 v3, 2, v3 :: v_dual_lshlrev_b32 v2, 2, v2
	ds_bpermute_b32 v5, v2, v4
	s_wait_dscnt 0x0
	v_add_f32_e32 v5, v4, v5
	ds_bpermute_b32 v7, v3, v5
	s_wait_dscnt 0x0
	v_dual_add_f32 v7, v5, v7 :: v_dual_bitop2_b32 v4, 4, v6 bitop3:0x14
	s_delay_alu instid0(VALU_DEP_1) | instskip(SKIP_1) | instid1(VALU_DEP_1)
	v_cmp_gt_i32_e32 vcc_lo, 32, v4
	v_dual_cndmask_b32 v4, v6, v4, vcc_lo :: v_dual_bitop2_b32 v5, 2, v6 bitop3:0x14
	v_cmp_gt_i32_e32 vcc_lo, 32, v5
	s_delay_alu instid0(VALU_DEP_2) | instskip(SKIP_4) | instid1(VALU_DEP_2)
	v_lshlrev_b32_e32 v4, 2, v4
	ds_bpermute_b32 v8, v4, v7
	v_cndmask_b32_e32 v5, v6, v5, vcc_lo
	v_cmp_gt_i32_e32 vcc_lo, 32, v9
	s_wait_dscnt 0x0
	v_dual_add_f32 v7, v7, v8 :: v_dual_lshlrev_b32 v5, 2, v5
	ds_bpermute_b32 v8, v5, v7
	s_wait_dscnt 0x0
	v_dual_cndmask_b32 v6, v6, v9 :: v_dual_add_f32 v9, v7, v8
	s_delay_alu instid0(VALU_DEP_1)
	v_dual_lshlrev_b32 v6, 2, v6 :: v_dual_bitop2_b32 v8, 31, v0 bitop3:0x40
	v_lshrrev_b32_e32 v7, 3, v0
	ds_bpermute_b32 v10, v6, v9
	v_cmp_eq_u32_e64 s3, 0, v8
	s_and_saveexec_b32 s4, s3
	s_cbranch_execz .LBB13_4
; %bb.3:
	s_wait_dscnt 0x0
	v_add_f32_e32 v9, v9, v10
	ds_store_b32 v7, v9
.LBB13_4:
	s_or_b32 exec_lo, exec_lo, s4
	s_wait_dscnt 0x0
	s_barrier_signal -1
	s_barrier_wait -1
	s_load_b32 s4, s[0:1], 0x3c
	v_dual_mov_b32 v9, 0 :: v_dual_lshlrev_b32 v8, 2, v8
	s_wait_kmcnt 0x0
	s_bfe_u32 s4, s4, 0xb0005
	s_delay_alu instid0(SALU_CYCLE_1)
	v_cmp_gt_u32_e64 s4, s4, v0
	s_and_saveexec_b32 s5, s4
; %bb.5:
	ds_load_b32 v9, v8
; %bb.6:
	s_or_b32 exec_lo, exec_lo, s5
	s_wait_dscnt 0x0
	ds_bpermute_b32 v10, v2, v9
	v_cmp_eq_u32_e64 s5, 0, v0
	s_cvt_f32_i32 s11, s9
	s_wait_dscnt 0x0
	v_add_f32_e32 v9, v9, v10
	ds_bpermute_b32 v10, v3, v9
	s_wait_dscnt 0x0
	v_add_f32_e32 v9, v9, v10
	ds_bpermute_b32 v10, v4, v9
	;; [unrolled: 3-line block ×4, first 2 shown]
	s_and_saveexec_b32 s12, s5
	s_cbranch_execz .LBB13_8
; %bb.7:
	s_wait_dscnt 0x0
	v_add_f32_e32 v9, v9, v10
	s_delay_alu instid0(VALU_DEP_1) | instskip(NEXT) | instid1(VALU_DEP_1)
	v_div_scale_f32 v10, null, s11, s11, v9
	v_rcp_f32_e32 v11, v10
	v_nop
	s_delay_alu instid0(TRANS32_DEP_1) | instskip(NEXT) | instid1(VALU_DEP_1)
	v_fma_f32 v12, -v10, v11, 1.0
	v_fmac_f32_e32 v11, v12, v11
	v_div_scale_f32 v13, vcc_lo, v9, s11, v9
	s_delay_alu instid0(VALU_DEP_1) | instskip(NEXT) | instid1(VALU_DEP_1)
	v_mul_f32_e32 v12, v13, v11
	v_fma_f32 v14, -v10, v12, v13
	s_delay_alu instid0(VALU_DEP_1) | instskip(NEXT) | instid1(VALU_DEP_1)
	v_fmac_f32_e32 v12, v14, v11
	v_fma_f32 v10, -v10, v12, v13
	s_delay_alu instid0(VALU_DEP_1) | instskip(NEXT) | instid1(VALU_DEP_1)
	v_div_fmas_f32 v10, v10, v11, v12
	v_div_fixup_f32 v9, v10, s11, v9
	v_mov_b32_e32 v10, 0
	ds_store_b32 v10, v9 offset:132
.LBB13_8:
	s_or_b32 exec_lo, exec_lo, s12
	v_mov_b32_e32 v9, 0
	s_wait_dscnt 0x0
	s_barrier_signal -1
	s_barrier_wait -1
	ds_load_b32 v10, v9 offset:132
	s_wait_dscnt 0x0
	v_sub_f32_e32 v10, v1, v10
	s_delay_alu instid0(VALU_DEP_1) | instskip(NEXT) | instid1(VALU_DEP_1)
	v_mul_f32_e32 v10, v10, v10
	v_cndmask_b32_e64 v10, 0, v10, s2
	ds_bpermute_b32 v11, v2, v10
	s_wait_dscnt 0x0
	v_add_f32_e32 v10, v10, v11
	ds_bpermute_b32 v11, v3, v10
	s_wait_dscnt 0x0
	v_add_f32_e32 v10, v10, v11
	;; [unrolled: 3-line block ×4, first 2 shown]
	ds_bpermute_b32 v11, v6, v10
	s_and_saveexec_b32 s12, s3
	s_cbranch_execz .LBB13_10
; %bb.9:
	s_wait_dscnt 0x0
	v_add_f32_e32 v10, v10, v11
	ds_store_b32 v7, v10
.LBB13_10:
	s_or_b32 exec_lo, exec_lo, s12
	s_wait_dscnt 0x0
	s_barrier_signal -1
	s_barrier_wait -1
	s_and_saveexec_b32 s3, s4
; %bb.11:
	ds_load_b32 v9, v8
; %bb.12:
	s_or_b32 exec_lo, exec_lo, s3
	s_wait_dscnt 0x0
	ds_bpermute_b32 v2, v2, v9
	s_wait_dscnt 0x0
	v_add_f32_e32 v2, v9, v2
	ds_bpermute_b32 v3, v3, v2
	s_wait_dscnt 0x0
	v_add_f32_e32 v2, v2, v3
	;; [unrolled: 3-line block ×4, first 2 shown]
	ds_bpermute_b32 v3, v6, v2
	s_and_saveexec_b32 s3, s5
	s_cbranch_execz .LBB13_14
; %bb.13:
	s_wait_dscnt 0x0
	v_add_f32_e32 v2, v2, v3
	s_delay_alu instid0(VALU_DEP_1) | instskip(NEXT) | instid1(VALU_DEP_1)
	v_div_scale_f32 v3, null, s11, s11, v2
	v_rcp_f32_e32 v4, v3
	v_nop
	s_delay_alu instid0(TRANS32_DEP_1) | instskip(NEXT) | instid1(VALU_DEP_1)
	v_fma_f32 v5, -v3, v4, 1.0
	v_fmac_f32_e32 v4, v5, v4
	v_div_scale_f32 v6, vcc_lo, v2, s11, v2
	s_delay_alu instid0(VALU_DEP_1) | instskip(NEXT) | instid1(VALU_DEP_1)
	v_mul_f32_e32 v5, v6, v4
	v_fma_f32 v7, -v3, v5, v6
	s_delay_alu instid0(VALU_DEP_1) | instskip(NEXT) | instid1(VALU_DEP_1)
	v_fmac_f32_e32 v5, v7, v4
	v_fma_f32 v3, -v3, v5, v6
	s_delay_alu instid0(VALU_DEP_1) | instskip(NEXT) | instid1(VALU_DEP_1)
	v_div_fmas_f32 v3, v3, v4, v5
	v_div_fixup_f32 v2, v3, s11, v2
	s_delay_alu instid0(VALU_DEP_1)
	v_dual_mov_b32 v3, 0 :: v_dual_add_f32 v2, s8, v2
	ds_store_b32 v3, v2 offset:128
.LBB13_14:
	s_or_b32 exec_lo, exec_lo, s3
	s_wait_dscnt 0x0
	s_barrier_signal -1
	s_barrier_wait -1
	s_and_saveexec_b32 s3, s2
	s_cbranch_execz .LBB13_16
; %bb.15:
	s_load_b128 s[12:15], s[0:1], 0x18
	v_mov_b32_e32 v2, 0
	s_wait_kmcnt 0x0
	s_clause 0x1
	global_load_u16 v4, v0, s[12:13] scale_offset
	global_load_u16 v5, v0, s[14:15] scale_offset
	ds_load_b64 v[2:3], v2 offset:128
	s_wait_dscnt 0x0
	v_readfirstlane_b32 s0, v2
	v_sub_f32_e32 v1, v1, v3
	s_cmp_lt_f32 s0, 0x800000
	s_mul_f32 s1, s0, 0x4b800000
	s_delay_alu instid0(SALU_CYCLE_3) | instskip(NEXT) | instid1(SALU_CYCLE_1)
	s_cselect_b32 s0, s1, s0
	v_s_rsq_f32 s0, s0
	s_delay_alu instid0(TRANS32_DEP_1) | instskip(NEXT) | instid1(SALU_CYCLE_3)
	s_mul_f32 s1, s0, 0x45800000
	s_cselect_b32 s0, s1, s0
	s_bfe_u32 s1, ttmp6, 0x4000c
	s_and_b32 s2, ttmp6, 15
	s_add_co_i32 s1, s1, 1
	v_nop
	v_mul_f32_e32 v1, s0, v1
	s_mul_i32 s1, ttmp9, s1
	s_delay_alu instid0(SALU_CYCLE_1)
	s_add_co_i32 s2, s2, s1
	s_cmp_eq_u32 s10, 0
	s_cselect_b32 s1, ttmp9, s2
	s_wait_xcnt 0x0
	v_mad_u32 v0, s9, s1, v0
	s_wait_loadcnt 0x0
	v_fma_mixlo_f16 v1, v1, v4, v5 op_sel_hi:[0,1,1]
	global_store_b16 v0, v1, s[6:7] scale_offset
.LBB13_16:
	s_endpgm
	.section	.rodata,"a",@progbits
	.p2align	6, 0x0
	.amdhsa_kernel _Z28addBiasResidualPostLayerNormI6__halfLi1ELi32EEvPT_PKS1_S4_S4_S4_fi
		.amdhsa_group_segment_fixed_size 136
		.amdhsa_private_segment_fixed_size 0
		.amdhsa_kernarg_size 304
		.amdhsa_user_sgpr_count 2
		.amdhsa_user_sgpr_dispatch_ptr 0
		.amdhsa_user_sgpr_queue_ptr 0
		.amdhsa_user_sgpr_kernarg_segment_ptr 1
		.amdhsa_user_sgpr_dispatch_id 0
		.amdhsa_user_sgpr_kernarg_preload_length 0
		.amdhsa_user_sgpr_kernarg_preload_offset 0
		.amdhsa_user_sgpr_private_segment_size 0
		.amdhsa_wavefront_size32 1
		.amdhsa_uses_dynamic_stack 0
		.amdhsa_enable_private_segment 0
		.amdhsa_system_sgpr_workgroup_id_x 1
		.amdhsa_system_sgpr_workgroup_id_y 0
		.amdhsa_system_sgpr_workgroup_id_z 0
		.amdhsa_system_sgpr_workgroup_info 0
		.amdhsa_system_vgpr_workitem_id 0
		.amdhsa_next_free_vgpr 15
		.amdhsa_next_free_sgpr 16
		.amdhsa_named_barrier_count 0
		.amdhsa_reserve_vcc 1
		.amdhsa_float_round_mode_32 0
		.amdhsa_float_round_mode_16_64 0
		.amdhsa_float_denorm_mode_32 3
		.amdhsa_float_denorm_mode_16_64 3
		.amdhsa_fp16_overflow 0
		.amdhsa_memory_ordered 1
		.amdhsa_forward_progress 1
		.amdhsa_inst_pref_size 11
		.amdhsa_round_robin_scheduling 0
		.amdhsa_exception_fp_ieee_invalid_op 0
		.amdhsa_exception_fp_denorm_src 0
		.amdhsa_exception_fp_ieee_div_zero 0
		.amdhsa_exception_fp_ieee_overflow 0
		.amdhsa_exception_fp_ieee_underflow 0
		.amdhsa_exception_fp_ieee_inexact 0
		.amdhsa_exception_int_div_zero 0
	.end_amdhsa_kernel
	.section	.text._Z28addBiasResidualPostLayerNormI6__halfLi1ELi32EEvPT_PKS1_S4_S4_S4_fi,"axG",@progbits,_Z28addBiasResidualPostLayerNormI6__halfLi1ELi32EEvPT_PKS1_S4_S4_S4_fi,comdat
.Lfunc_end13:
	.size	_Z28addBiasResidualPostLayerNormI6__halfLi1ELi32EEvPT_PKS1_S4_S4_S4_fi, .Lfunc_end13-_Z28addBiasResidualPostLayerNormI6__halfLi1ELi32EEvPT_PKS1_S4_S4_S4_fi
                                        ; -- End function
	.set _Z28addBiasResidualPostLayerNormI6__halfLi1ELi32EEvPT_PKS1_S4_S4_S4_fi.num_vgpr, 15
	.set _Z28addBiasResidualPostLayerNormI6__halfLi1ELi32EEvPT_PKS1_S4_S4_S4_fi.num_agpr, 0
	.set _Z28addBiasResidualPostLayerNormI6__halfLi1ELi32EEvPT_PKS1_S4_S4_S4_fi.numbered_sgpr, 16
	.set _Z28addBiasResidualPostLayerNormI6__halfLi1ELi32EEvPT_PKS1_S4_S4_S4_fi.num_named_barrier, 0
	.set _Z28addBiasResidualPostLayerNormI6__halfLi1ELi32EEvPT_PKS1_S4_S4_S4_fi.private_seg_size, 0
	.set _Z28addBiasResidualPostLayerNormI6__halfLi1ELi32EEvPT_PKS1_S4_S4_S4_fi.uses_vcc, 1
	.set _Z28addBiasResidualPostLayerNormI6__halfLi1ELi32EEvPT_PKS1_S4_S4_S4_fi.uses_flat_scratch, 0
	.set _Z28addBiasResidualPostLayerNormI6__halfLi1ELi32EEvPT_PKS1_S4_S4_S4_fi.has_dyn_sized_stack, 0
	.set _Z28addBiasResidualPostLayerNormI6__halfLi1ELi32EEvPT_PKS1_S4_S4_S4_fi.has_recursion, 0
	.set _Z28addBiasResidualPostLayerNormI6__halfLi1ELi32EEvPT_PKS1_S4_S4_S4_fi.has_indirect_call, 0
	.section	.AMDGPU.csdata,"",@progbits
; Kernel info:
; codeLenInByte = 1312
; TotalNumSgprs: 18
; NumVgprs: 15
; ScratchSize: 0
; MemoryBound: 0
; FloatMode: 240
; IeeeMode: 1
; LDSByteSize: 136 bytes/workgroup (compile time only)
; SGPRBlocks: 0
; VGPRBlocks: 0
; NumSGPRsForWavesPerEU: 18
; NumVGPRsForWavesPerEU: 15
; NamedBarCnt: 0
; Occupancy: 16
; WaveLimiterHint : 0
; COMPUTE_PGM_RSRC2:SCRATCH_EN: 0
; COMPUTE_PGM_RSRC2:USER_SGPR: 2
; COMPUTE_PGM_RSRC2:TRAP_HANDLER: 0
; COMPUTE_PGM_RSRC2:TGID_X_EN: 1
; COMPUTE_PGM_RSRC2:TGID_Y_EN: 0
; COMPUTE_PGM_RSRC2:TGID_Z_EN: 0
; COMPUTE_PGM_RSRC2:TIDIG_COMP_CNT: 0
	.section	.text._Z28addBiasResidualPostLayerNormI6__halfLi2ELi32EEvPT_PKS1_S4_S4_S4_fi,"axG",@progbits,_Z28addBiasResidualPostLayerNormI6__halfLi2ELi32EEvPT_PKS1_S4_S4_S4_fi,comdat
	.protected	_Z28addBiasResidualPostLayerNormI6__halfLi2ELi32EEvPT_PKS1_S4_S4_S4_fi ; -- Begin function _Z28addBiasResidualPostLayerNormI6__halfLi2ELi32EEvPT_PKS1_S4_S4_S4_fi
	.globl	_Z28addBiasResidualPostLayerNormI6__halfLi2ELi32EEvPT_PKS1_S4_S4_S4_fi
	.p2align	8
	.type	_Z28addBiasResidualPostLayerNormI6__halfLi2ELi32EEvPT_PKS1_S4_S4_S4_fi,@function
_Z28addBiasResidualPostLayerNormI6__halfLi2ELi32EEvPT_PKS1_S4_S4_S4_fi: ; @_Z28addBiasResidualPostLayerNormI6__halfLi2ELi32EEvPT_PKS1_S4_S4_S4_fi
; %bb.0:
	s_clause 0x1
	s_load_b64 s[10:11], s[0:1], 0x28
	s_load_b64 s[8:9], s[0:1], 0x0
	v_dual_mov_b32 v5, 0 :: v_dual_mov_b32 v4, 0
	v_mov_b32_e32 v3, 0
	s_getreg_b32 s14, hwreg(HW_REG_IB_STS2, 6, 4)
	s_wait_kmcnt 0x0
	v_cmp_gt_i32_e64 s2, s11, v0
	s_and_saveexec_b32 s3, s2
	s_cbranch_execz .LBB14_4
; %bb.1:
	s_load_b128 s[4:7], s[0:1], 0x8
	s_bfe_u32 s12, ttmp6, 0x4000c
	s_and_b32 s13, ttmp6, 15
	s_add_co_i32 s12, s12, 1
	s_mov_b32 s15, exec_lo
	s_mul_i32 s12, ttmp9, s12
	s_delay_alu instid0(SALU_CYCLE_1) | instskip(SKIP_4) | instid1(SALU_CYCLE_1)
	s_add_co_i32 s13, s13, s12
	s_cmp_eq_u32 s14, 0
	s_cselect_b32 s12, ttmp9, s13
	s_load_b32 s13, s[0:1], 0x3c
	s_mul_i32 s12, s11, s12
	v_add_nc_u32_e32 v1, s12, v0
	global_load_u16 v2, v1, s[8:9] scale_offset
	s_wait_kmcnt 0x0
	global_load_u16 v3, v1, s[4:5] scale_offset
	global_load_u16 v4, v0, s[6:7] scale_offset
	s_and_b32 s16, s13, 0xffff
	s_mov_b32 s13, 0
	s_wait_loadcnt 0x1
	s_wait_xcnt 0x1
	v_add_f16_e32 v1, v2, v3
	v_mov_b32_e32 v3, 0
	s_wait_loadcnt 0x0
	s_delay_alu instid0(VALU_DEP_2) | instskip(NEXT) | instid1(VALU_DEP_1)
	v_add_f16_e32 v1, v1, v4
	v_cvt_f32_f16_e32 v4, v1
	v_add_nc_u32_e32 v1, s16, v0
	s_delay_alu instid0(VALU_DEP_2) | instskip(NEXT) | instid1(VALU_DEP_2)
	v_add_f32_e32 v5, 0, v4
	v_cmpx_gt_u32_e64 s11, v1
	s_cbranch_execz .LBB14_3
; %bb.2:
	v_dual_lshlrev_b32 v2, 1, v0 :: v_dual_add_nc_u32 v1, s12, v1
	s_lshl_b32 s12, s16, 1
	s_delay_alu instid0(VALU_DEP_1) | instskip(NEXT) | instid1(VALU_DEP_1)
	v_add_nc_u64_e32 v[2:3], s[6:7], v[2:3]
	v_add_nc_u64_e32 v[2:3], s[12:13], v[2:3]
	s_clause 0x1
	global_load_u16 v6, v1, s[8:9] scale_offset
	global_load_u16 v7, v1, s[4:5] scale_offset
	global_load_u16 v8, v[2:3], off
	s_wait_loadcnt 0x1
	s_wait_xcnt 0x1
	v_add_f16_e32 v1, v6, v7
	s_wait_loadcnt 0x0
	s_delay_alu instid0(VALU_DEP_1) | instskip(NEXT) | instid1(VALU_DEP_1)
	v_add_f16_e32 v1, v1, v8
	v_cvt_f32_f16_e32 v3, v1
	s_delay_alu instid0(VALU_DEP_1)
	v_add_f32_e32 v5, v5, v3
.LBB14_3:
	s_or_b32 exec_lo, exec_lo, s15
.LBB14_4:
	s_delay_alu instid0(SALU_CYCLE_1) | instskip(SKIP_1) | instid1(VALU_DEP_1)
	s_or_b32 exec_lo, exec_lo, s3
	v_mbcnt_lo_u32_b32 v2, -1, 0
	v_xor_b32_e32 v1, 16, v2
	v_xor_b32_e32 v6, 8, v2
	v_xor_b32_e32 v10, 1, v2
	s_delay_alu instid0(VALU_DEP_3) | instskip(SKIP_1) | instid1(VALU_DEP_4)
	v_cmp_gt_i32_e32 vcc_lo, 32, v1
	v_cndmask_b32_e32 v1, v2, v1, vcc_lo
	v_cmp_gt_i32_e32 vcc_lo, 32, v6
	s_delay_alu instid0(VALU_DEP_2) | instskip(SKIP_3) | instid1(VALU_DEP_1)
	v_dual_cndmask_b32 v6, v2, v6 :: v_dual_lshlrev_b32 v1, 2, v1
	ds_bpermute_b32 v7, v1, v5
	s_wait_dscnt 0x0
	v_dual_add_f32 v5, v5, v7 :: v_dual_bitop2_b32 v7, 4, v2 bitop3:0x14
	v_cmp_gt_i32_e32 vcc_lo, 32, v7
	v_dual_cndmask_b32 v7, v2, v7 :: v_dual_lshlrev_b32 v6, 2, v6
	ds_bpermute_b32 v8, v6, v5
	s_wait_dscnt 0x0
	v_dual_lshlrev_b32 v7, 2, v7 :: v_dual_add_f32 v5, v5, v8
	v_xor_b32_e32 v8, 2, v2
	ds_bpermute_b32 v9, v7, v5
	v_cmp_gt_i32_e32 vcc_lo, 32, v8
	v_cndmask_b32_e32 v8, v2, v8, vcc_lo
	v_cmp_gt_i32_e32 vcc_lo, 32, v10
	s_wait_dscnt 0x0
	s_delay_alu instid0(VALU_DEP_2) | instskip(SKIP_3) | instid1(VALU_DEP_1)
	v_dual_add_f32 v5, v5, v9 :: v_dual_lshlrev_b32 v8, 2, v8
	ds_bpermute_b32 v9, v8, v5
	v_dual_cndmask_b32 v2, v2, v10, vcc_lo :: v_dual_lshrrev_b32 v10, 3, v0
	s_wait_dscnt 0x0
	v_dual_add_f32 v5, v5, v9 :: v_dual_lshlrev_b32 v9, 2, v2
	v_and_b32_e32 v2, 31, v0
	ds_bpermute_b32 v11, v9, v5
	v_cmp_eq_u32_e64 s3, 0, v2
	s_and_saveexec_b32 s4, s3
	s_cbranch_execz .LBB14_6
; %bb.5:
	s_wait_dscnt 0x0
	v_add_f32_e32 v5, v5, v11
	ds_store_b32 v10, v5
.LBB14_6:
	s_or_b32 exec_lo, exec_lo, s4
	s_wait_dscnt 0x0
	s_barrier_signal -1
	s_barrier_wait -1
	s_load_b32 s7, s[0:1], 0x3c
	v_dual_mov_b32 v5, 0 :: v_dual_lshlrev_b32 v11, 2, v2
	s_wait_kmcnt 0x0
	s_bfe_u32 s4, s7, 0xb0005
	s_delay_alu instid0(SALU_CYCLE_1)
	v_cmp_gt_u32_e64 s4, s4, v0
	s_and_saveexec_b32 s5, s4
; %bb.7:
	ds_load_b32 v5, v11
; %bb.8:
	s_or_b32 exec_lo, exec_lo, s5
	s_wait_dscnt 0x0
	ds_bpermute_b32 v2, v1, v5
	v_cmp_eq_u32_e64 s5, 0, v0
	s_cvt_f32_i32 s6, s11
	s_wait_dscnt 0x0
	v_add_f32_e32 v2, v5, v2
	ds_bpermute_b32 v5, v6, v2
	s_wait_dscnt 0x0
	v_add_f32_e32 v2, v2, v5
	ds_bpermute_b32 v5, v7, v2
	;; [unrolled: 3-line block ×4, first 2 shown]
	s_and_saveexec_b32 s12, s5
	s_cbranch_execz .LBB14_10
; %bb.9:
	s_wait_dscnt 0x0
	v_add_f32_e32 v2, v2, v5
	s_delay_alu instid0(VALU_DEP_1) | instskip(NEXT) | instid1(VALU_DEP_1)
	v_div_scale_f32 v5, null, s6, s6, v2
	v_rcp_f32_e32 v12, v5
	v_nop
	s_delay_alu instid0(TRANS32_DEP_1) | instskip(NEXT) | instid1(VALU_DEP_1)
	v_fma_f32 v13, -v5, v12, 1.0
	v_fmac_f32_e32 v12, v13, v12
	v_div_scale_f32 v14, vcc_lo, v2, s6, v2
	s_delay_alu instid0(VALU_DEP_1) | instskip(NEXT) | instid1(VALU_DEP_1)
	v_mul_f32_e32 v13, v14, v12
	v_fma_f32 v15, -v5, v13, v14
	s_delay_alu instid0(VALU_DEP_1) | instskip(NEXT) | instid1(VALU_DEP_1)
	v_fmac_f32_e32 v13, v15, v12
	v_fma_f32 v5, -v5, v13, v14
	s_delay_alu instid0(VALU_DEP_1) | instskip(NEXT) | instid1(VALU_DEP_1)
	v_div_fmas_f32 v5, v5, v12, v13
	v_div_fixup_f32 v2, v5, s6, v2
	v_mov_b32_e32 v5, 0
	ds_store_b32 v5, v2 offset:132
.LBB14_10:
	s_or_b32 exec_lo, exec_lo, s12
	s_and_b32 s12, 0xffff, s7
	s_wait_dscnt 0x0
	v_dual_mov_b32 v5, 0 :: v_dual_add_nc_u32 v2, s12, v0
	s_barrier_signal -1
	s_barrier_wait -1
	s_and_saveexec_b32 s7, s2
	s_cbranch_execz .LBB14_12
; %bb.11:
	v_mov_b32_e32 v5, 0
	v_cmp_gt_u32_e32 vcc_lo, s11, v2
	ds_load_b32 v12, v5 offset:132
	v_mov_b32_e32 v5, v3
	s_wait_dscnt 0x0
	s_delay_alu instid0(VALU_DEP_1) | instskip(NEXT) | instid1(VALU_DEP_1)
	v_pk_add_f32 v[12:13], v[4:5], v[12:13] op_sel_hi:[1,0] neg_lo:[0,1] neg_hi:[0,1]
	v_pk_mul_f32 v[12:13], v[12:13], v[12:13]
	s_delay_alu instid0(VALU_DEP_1) | instskip(NEXT) | instid1(VALU_DEP_1)
	v_add_f32_e32 v5, v12, v13
	v_cndmask_b32_e32 v5, v12, v5, vcc_lo
.LBB14_12:
	s_or_b32 exec_lo, exec_lo, s7
	ds_bpermute_b32 v12, v1, v5
	s_wait_dscnt 0x0
	v_add_f32_e32 v5, v5, v12
	ds_bpermute_b32 v12, v6, v5
	s_wait_dscnt 0x0
	v_add_f32_e32 v5, v5, v12
	;; [unrolled: 3-line block ×4, first 2 shown]
	ds_bpermute_b32 v12, v9, v5
	s_and_saveexec_b32 s7, s3
	s_cbranch_execz .LBB14_14
; %bb.13:
	s_wait_dscnt 0x0
	v_add_f32_e32 v5, v5, v12
	ds_store_b32 v10, v5
.LBB14_14:
	s_or_b32 exec_lo, exec_lo, s7
	v_mov_b32_e32 v5, 0
	s_wait_dscnt 0x0
	s_barrier_signal -1
	s_barrier_wait -1
	s_and_saveexec_b32 s3, s4
; %bb.15:
	ds_load_b32 v5, v11
; %bb.16:
	s_or_b32 exec_lo, exec_lo, s3
	s_wait_dscnt 0x0
	ds_bpermute_b32 v1, v1, v5
	s_wait_dscnt 0x0
	v_add_f32_e32 v1, v5, v1
	ds_bpermute_b32 v5, v6, v1
	s_wait_dscnt 0x0
	v_add_f32_e32 v1, v1, v5
	;; [unrolled: 3-line block ×4, first 2 shown]
	ds_bpermute_b32 v5, v9, v1
	s_and_saveexec_b32 s3, s5
	s_cbranch_execz .LBB14_18
; %bb.17:
	s_wait_dscnt 0x0
	v_add_f32_e32 v1, v1, v5
	s_delay_alu instid0(VALU_DEP_1) | instskip(NEXT) | instid1(VALU_DEP_1)
	v_div_scale_f32 v5, null, s6, s6, v1
	v_rcp_f32_e32 v6, v5
	v_nop
	s_delay_alu instid0(TRANS32_DEP_1) | instskip(NEXT) | instid1(VALU_DEP_1)
	v_fma_f32 v7, -v5, v6, 1.0
	v_fmac_f32_e32 v6, v7, v6
	v_div_scale_f32 v8, vcc_lo, v1, s6, v1
	s_delay_alu instid0(VALU_DEP_1) | instskip(NEXT) | instid1(VALU_DEP_1)
	v_mul_f32_e32 v7, v8, v6
	v_fma_f32 v9, -v5, v7, v8
	s_delay_alu instid0(VALU_DEP_1) | instskip(NEXT) | instid1(VALU_DEP_1)
	v_fmac_f32_e32 v7, v9, v6
	v_fma_f32 v5, -v5, v7, v8
	s_delay_alu instid0(VALU_DEP_1) | instskip(NEXT) | instid1(VALU_DEP_1)
	v_div_fmas_f32 v5, v5, v6, v7
	v_div_fixup_f32 v1, v5, s6, v1
	s_delay_alu instid0(VALU_DEP_1)
	v_dual_mov_b32 v5, 0 :: v_dual_add_f32 v1, s10, v1
	ds_store_b32 v5, v1 offset:128
.LBB14_18:
	s_or_b32 exec_lo, exec_lo, s3
	s_wait_dscnt 0x0
	s_barrier_signal -1
	s_barrier_wait -1
	s_and_saveexec_b32 s3, s2
	s_cbranch_execz .LBB14_21
; %bb.19:
	s_load_b128 s[4:7], s[0:1], 0x18
	v_mov_b32_e32 v1, 0
	v_cmp_gt_u32_e32 vcc_lo, s11, v2
	s_wait_kmcnt 0x0
	s_clause 0x1
	global_load_u16 v5, v0, s[4:5] scale_offset
	global_load_u16 v8, v0, s[6:7] scale_offset
	ds_load_b64 v[6:7], v1 offset:128
	s_wait_dscnt 0x0
	v_readfirstlane_b32 s0, v6
	v_sub_f32_e32 v4, v4, v7
	s_cmp_lt_f32 s0, 0x800000
	s_mul_f32 s1, s0, 0x4b800000
	s_delay_alu instid0(SALU_CYCLE_3) | instskip(NEXT) | instid1(SALU_CYCLE_1)
	s_cselect_b32 s0, s1, s0
	v_s_rsq_f32 s0, s0
	s_delay_alu instid0(TRANS32_DEP_1) | instskip(NEXT) | instid1(SALU_CYCLE_3)
	s_mul_f32 s1, s0, 0x45800000
	s_cselect_b32 s2, s1, s0
	s_bfe_u32 s0, ttmp6, 0x4000c
	s_and_b32 s1, ttmp6, 15
	s_add_co_i32 s0, s0, 1
	v_mul_f32_e32 v4, s2, v4
	s_mul_i32 s0, ttmp9, s0
	s_delay_alu instid0(SALU_CYCLE_1)
	s_add_co_i32 s1, s1, s0
	s_cmp_eq_u32 s14, 0
	s_cselect_b32 s0, ttmp9, s1
	s_mov_b32 s1, 0
	s_mul_i32 s3, s11, s0
	s_wait_loadcnt 0x0
	v_fma_mixlo_f16 v4, v4, v5, v8 op_sel_hi:[0,1,1]
	v_add_nc_u32_e32 v5, s3, v0
	global_store_b16 v5, v4, s[8:9] scale_offset
	s_wait_xcnt 0x0
	s_and_b32 exec_lo, exec_lo, vcc_lo
	s_cbranch_execz .LBB14_21
; %bb.20:
	v_lshlrev_b32_e32 v0, 1, v0
	s_lshl_b32 s0, s12, 1
	s_delay_alu instid0(VALU_DEP_1) | instskip(SKIP_1) | instid1(VALU_DEP_2)
	v_add_nc_u64_e32 v[4:5], s[4:5], v[0:1]
	v_add_nc_u64_e32 v[0:1], s[6:7], v[0:1]
	;; [unrolled: 1-line block ×3, first 2 shown]
	s_delay_alu instid0(VALU_DEP_2) | instskip(SKIP_4) | instid1(VALU_DEP_1)
	v_add_nc_u64_e32 v[0:1], s[0:1], v[0:1]
	global_load_u16 v6, v[4:5], off
	global_load_u16 v8, v[0:1], off
	s_wait_xcnt 0x0
	v_dual_sub_f32 v0, v3, v7 :: v_dual_add_nc_u32 v1, s3, v2
	v_mul_f32_e32 v0, s2, v0
	s_wait_loadcnt 0x0
	s_delay_alu instid0(VALU_DEP_1)
	v_fma_mixlo_f16 v0, v0, v6, v8 op_sel_hi:[0,1,1]
	global_store_b16 v1, v0, s[8:9] scale_offset
.LBB14_21:
	s_endpgm
	.section	.rodata,"a",@progbits
	.p2align	6, 0x0
	.amdhsa_kernel _Z28addBiasResidualPostLayerNormI6__halfLi2ELi32EEvPT_PKS1_S4_S4_S4_fi
		.amdhsa_group_segment_fixed_size 136
		.amdhsa_private_segment_fixed_size 0
		.amdhsa_kernarg_size 304
		.amdhsa_user_sgpr_count 2
		.amdhsa_user_sgpr_dispatch_ptr 0
		.amdhsa_user_sgpr_queue_ptr 0
		.amdhsa_user_sgpr_kernarg_segment_ptr 1
		.amdhsa_user_sgpr_dispatch_id 0
		.amdhsa_user_sgpr_kernarg_preload_length 0
		.amdhsa_user_sgpr_kernarg_preload_offset 0
		.amdhsa_user_sgpr_private_segment_size 0
		.amdhsa_wavefront_size32 1
		.amdhsa_uses_dynamic_stack 0
		.amdhsa_enable_private_segment 0
		.amdhsa_system_sgpr_workgroup_id_x 1
		.amdhsa_system_sgpr_workgroup_id_y 0
		.amdhsa_system_sgpr_workgroup_id_z 0
		.amdhsa_system_sgpr_workgroup_info 0
		.amdhsa_system_vgpr_workitem_id 0
		.amdhsa_next_free_vgpr 16
		.amdhsa_next_free_sgpr 17
		.amdhsa_named_barrier_count 0
		.amdhsa_reserve_vcc 1
		.amdhsa_float_round_mode_32 0
		.amdhsa_float_round_mode_16_64 0
		.amdhsa_float_denorm_mode_32 3
		.amdhsa_float_denorm_mode_16_64 3
		.amdhsa_fp16_overflow 0
		.amdhsa_memory_ordered 1
		.amdhsa_forward_progress 1
		.amdhsa_inst_pref_size 13
		.amdhsa_round_robin_scheduling 0
		.amdhsa_exception_fp_ieee_invalid_op 0
		.amdhsa_exception_fp_denorm_src 0
		.amdhsa_exception_fp_ieee_div_zero 0
		.amdhsa_exception_fp_ieee_overflow 0
		.amdhsa_exception_fp_ieee_underflow 0
		.amdhsa_exception_fp_ieee_inexact 0
		.amdhsa_exception_int_div_zero 0
	.end_amdhsa_kernel
	.section	.text._Z28addBiasResidualPostLayerNormI6__halfLi2ELi32EEvPT_PKS1_S4_S4_S4_fi,"axG",@progbits,_Z28addBiasResidualPostLayerNormI6__halfLi2ELi32EEvPT_PKS1_S4_S4_S4_fi,comdat
.Lfunc_end14:
	.size	_Z28addBiasResidualPostLayerNormI6__halfLi2ELi32EEvPT_PKS1_S4_S4_S4_fi, .Lfunc_end14-_Z28addBiasResidualPostLayerNormI6__halfLi2ELi32EEvPT_PKS1_S4_S4_S4_fi
                                        ; -- End function
	.set _Z28addBiasResidualPostLayerNormI6__halfLi2ELi32EEvPT_PKS1_S4_S4_S4_fi.num_vgpr, 16
	.set _Z28addBiasResidualPostLayerNormI6__halfLi2ELi32EEvPT_PKS1_S4_S4_S4_fi.num_agpr, 0
	.set _Z28addBiasResidualPostLayerNormI6__halfLi2ELi32EEvPT_PKS1_S4_S4_S4_fi.numbered_sgpr, 17
	.set _Z28addBiasResidualPostLayerNormI6__halfLi2ELi32EEvPT_PKS1_S4_S4_S4_fi.num_named_barrier, 0
	.set _Z28addBiasResidualPostLayerNormI6__halfLi2ELi32EEvPT_PKS1_S4_S4_S4_fi.private_seg_size, 0
	.set _Z28addBiasResidualPostLayerNormI6__halfLi2ELi32EEvPT_PKS1_S4_S4_S4_fi.uses_vcc, 1
	.set _Z28addBiasResidualPostLayerNormI6__halfLi2ELi32EEvPT_PKS1_S4_S4_S4_fi.uses_flat_scratch, 0
	.set _Z28addBiasResidualPostLayerNormI6__halfLi2ELi32EEvPT_PKS1_S4_S4_S4_fi.has_dyn_sized_stack, 0
	.set _Z28addBiasResidualPostLayerNormI6__halfLi2ELi32EEvPT_PKS1_S4_S4_S4_fi.has_recursion, 0
	.set _Z28addBiasResidualPostLayerNormI6__halfLi2ELi32EEvPT_PKS1_S4_S4_S4_fi.has_indirect_call, 0
	.section	.AMDGPU.csdata,"",@progbits
; Kernel info:
; codeLenInByte = 1636
; TotalNumSgprs: 19
; NumVgprs: 16
; ScratchSize: 0
; MemoryBound: 0
; FloatMode: 240
; IeeeMode: 1
; LDSByteSize: 136 bytes/workgroup (compile time only)
; SGPRBlocks: 0
; VGPRBlocks: 0
; NumSGPRsForWavesPerEU: 19
; NumVGPRsForWavesPerEU: 16
; NamedBarCnt: 0
; Occupancy: 16
; WaveLimiterHint : 0
; COMPUTE_PGM_RSRC2:SCRATCH_EN: 0
; COMPUTE_PGM_RSRC2:USER_SGPR: 2
; COMPUTE_PGM_RSRC2:TRAP_HANDLER: 0
; COMPUTE_PGM_RSRC2:TGID_X_EN: 1
; COMPUTE_PGM_RSRC2:TGID_Y_EN: 0
; COMPUTE_PGM_RSRC2:TGID_Z_EN: 0
; COMPUTE_PGM_RSRC2:TIDIG_COMP_CNT: 0
	.section	.text._Z35generalAddBiasResidualPostLayerNormI6__halfLi32EEvPT_PKS1_S4_S4_S4_fi,"axG",@progbits,_Z35generalAddBiasResidualPostLayerNormI6__halfLi32EEvPT_PKS1_S4_S4_S4_fi,comdat
	.protected	_Z35generalAddBiasResidualPostLayerNormI6__halfLi32EEvPT_PKS1_S4_S4_S4_fi ; -- Begin function _Z35generalAddBiasResidualPostLayerNormI6__halfLi32EEvPT_PKS1_S4_S4_S4_fi
	.globl	_Z35generalAddBiasResidualPostLayerNormI6__halfLi32EEvPT_PKS1_S4_S4_S4_fi
	.p2align	8
	.type	_Z35generalAddBiasResidualPostLayerNormI6__halfLi32EEvPT_PKS1_S4_S4_S4_fi,@function
_Z35generalAddBiasResidualPostLayerNormI6__halfLi32EEvPT_PKS1_S4_S4_S4_fi: ; @_Z35generalAddBiasResidualPostLayerNormI6__halfLi32EEvPT_PKS1_S4_S4_S4_fi
; %bb.0:
	s_clause 0x1
	s_load_b64 s[10:11], s[0:1], 0x28
	s_load_b64 s[8:9], s[0:1], 0x0
	v_dual_mov_b32 v3, 0 :: v_dual_lshlrev_b32 v2, 2, v0
	s_getreg_b32 s15, hwreg(HW_REG_IB_STS2, 6, 4)
	s_wait_kmcnt 0x0
	s_lshr_b32 s2, s11, 31
	s_delay_alu instid0(SALU_CYCLE_1) | instskip(NEXT) | instid1(SALU_CYCLE_1)
	s_add_co_i32 s2, s11, s2
	s_ashr_i32 s14, s2, 1
	s_delay_alu instid0(SALU_CYCLE_1)
	v_cmp_gt_i32_e64 s2, s14, v0
	s_and_saveexec_b32 s3, s2
	s_cbranch_execz .LBB15_4
; %bb.1:
	s_clause 0x1
	s_load_b128 s[4:7], s[0:1], 0x8
	s_load_b32 s12, s[0:1], 0x3c
	s_bfe_u32 s13, ttmp6, 0x4000c
	v_dual_mov_b32 v3, 0 :: v_dual_mov_b32 v1, v0
	s_add_co_i32 s13, s13, 1
	s_and_b32 s16, ttmp6, 15
	s_mul_i32 s13, ttmp9, s13
	s_delay_alu instid0(SALU_CYCLE_1) | instskip(SKIP_3) | instid1(SALU_CYCLE_1)
	s_add_co_i32 s16, s16, s13
	s_cmp_eq_u32 s15, 0
	s_mov_b32 s13, 0
	s_cselect_b32 s16, ttmp9, s16
	s_mul_i32 s16, s11, s16
	s_wait_kmcnt 0x0
	v_add_nc_u64_e32 v[4:5], s[6:7], v[2:3]
	s_and_b32 s6, s12, 0xffff
	s_lshr_b32 s7, s16, 1
	s_lshl_b32 s12, s6, 2
	s_mov_b32 s16, s13
.LBB15_2:                               ; =>This Inner Loop Header: Depth=1
	v_add_nc_u32_e32 v6, s7, v1
	s_clause 0x1
	global_load_b32 v7, v6, s[8:9] scale_offset
	global_load_b32 v8, v6, s[4:5] scale_offset
	global_load_b32 v9, v[4:5], off
	s_wait_xcnt 0x0
	v_add_nc_u64_e32 v[4:5], s[12:13], v[4:5]
	s_wait_loadcnt 0x1
	v_pk_add_f16 v7, v7, v8
	s_wait_loadcnt 0x0
	s_delay_alu instid0(VALU_DEP_1) | instskip(NEXT) | instid1(VALU_DEP_1)
	v_pk_add_f16 v7, v7, v9
	v_lshrrev_b32_e32 v8, 16, v7
	v_cvt_f32_f16_e32 v9, v7
	global_store_b32 v6, v7, s[8:9] scale_offset
	v_cvt_f32_f16_e32 v8, v8
	v_add_f32_e32 v3, v3, v9
	s_delay_alu instid0(VALU_DEP_1) | instskip(NEXT) | instid1(VALU_DEP_1)
	v_dual_add_nc_u32 v1, s6, v1 :: v_dual_add_f32 v3, v3, v8
	v_cmp_le_i32_e32 vcc_lo, s14, v1
	s_or_b32 s16, vcc_lo, s16
	s_wait_xcnt 0x0
	s_and_not1_b32 exec_lo, exec_lo, s16
	s_cbranch_execnz .LBB15_2
; %bb.3:
	s_or_b32 exec_lo, exec_lo, s16
.LBB15_4:
	s_delay_alu instid0(SALU_CYCLE_1) | instskip(SKIP_2) | instid1(VALU_DEP_1)
	s_or_b32 exec_lo, exec_lo, s3
	v_mbcnt_lo_u32_b32 v4, -1, 0
	s_load_b128 s[4:7], s[0:1], 0x18
	v_xor_b32_e32 v6, 8, v4
	v_xor_b32_e32 v1, 16, v4
	;; [unrolled: 1-line block ×3, first 2 shown]
	s_delay_alu instid0(VALU_DEP_2) | instskip(SKIP_3) | instid1(VALU_DEP_1)
	v_cmp_gt_i32_e32 vcc_lo, 32, v1
	v_cndmask_b32_e32 v1, v4, v1, vcc_lo
	v_cmp_gt_i32_e32 vcc_lo, 32, v6
	v_cndmask_b32_e32 v6, v4, v6, vcc_lo
	v_dual_lshlrev_b32 v6, 2, v6 :: v_dual_lshlrev_b32 v1, 2, v1
	ds_bpermute_b32 v5, v1, v3
	s_wait_dscnt 0x0
	v_dual_add_f32 v5, v3, v5 :: v_dual_bitop2_b32 v3, 4, v4 bitop3:0x14
	ds_bpermute_b32 v7, v6, v5
	v_cmp_gt_i32_e32 vcc_lo, 32, v3
	v_cndmask_b32_e32 v3, v4, v3, vcc_lo
	s_wait_dscnt 0x0
	v_dual_add_f32 v5, v5, v7 :: v_dual_bitop2_b32 v7, 2, v4 bitop3:0x14
	s_delay_alu instid0(VALU_DEP_1) | instskip(SKIP_3) | instid1(VALU_DEP_3)
	v_cmp_gt_i32_e32 vcc_lo, 32, v7
	v_cndmask_b32_e32 v7, v4, v7, vcc_lo
	v_lshlrev_b32_e32 v3, 2, v3
	v_cmp_gt_i32_e32 vcc_lo, 32, v9
	v_lshlrev_b32_e32 v7, 2, v7
	ds_bpermute_b32 v8, v3, v5
	s_wait_dscnt 0x0
	v_add_f32_e32 v5, v5, v8
	ds_bpermute_b32 v8, v7, v5
	v_dual_cndmask_b32 v4, v4, v9 :: v_dual_lshrrev_b32 v9, 3, v0
	s_wait_dscnt 0x0
	v_add_f32_e32 v5, v5, v8
	s_delay_alu instid0(VALU_DEP_2)
	v_lshlrev_b32_e32 v8, 2, v4
	v_and_b32_e32 v4, 31, v0
	ds_bpermute_b32 v10, v8, v5
	v_cmp_eq_u32_e64 s3, 0, v4
	s_and_saveexec_b32 s12, s3
	s_cbranch_execz .LBB15_6
; %bb.5:
	s_wait_dscnt 0x0
	v_add_f32_e32 v5, v5, v10
	ds_store_b32 v9, v5
.LBB15_6:
	s_or_b32 exec_lo, exec_lo, s12
	s_wait_storecnt_dscnt 0x0
	s_barrier_signal -1
	s_barrier_wait -1
	s_load_b32 s12, s[0:1], 0x3c
	v_dual_mov_b32 v5, 0 :: v_dual_lshlrev_b32 v10, 2, v4
	s_wait_kmcnt 0x0
	s_bfe_u32 s0, s12, 0xb0005
	s_delay_alu instid0(SALU_CYCLE_1)
	v_cmp_gt_u32_e64 s0, s0, v0
	s_and_saveexec_b32 s1, s0
; %bb.7:
	ds_load_b32 v5, v10
; %bb.8:
	s_or_b32 exec_lo, exec_lo, s1
	s_wait_dscnt 0x0
	ds_bpermute_b32 v4, v1, v5
	v_cmp_eq_u32_e64 s1, 0, v0
	s_cvt_f32_i32 s13, s11
	s_wait_dscnt 0x0
	v_add_f32_e32 v4, v5, v4
	ds_bpermute_b32 v5, v6, v4
	s_wait_dscnt 0x0
	v_add_f32_e32 v4, v4, v5
	ds_bpermute_b32 v5, v3, v4
	;; [unrolled: 3-line block ×4, first 2 shown]
	s_and_saveexec_b32 s16, s1
	s_cbranch_execz .LBB15_10
; %bb.9:
	s_wait_dscnt 0x0
	v_add_f32_e32 v4, v4, v5
	s_delay_alu instid0(VALU_DEP_1) | instskip(SKIP_1) | instid1(VALU_DEP_2)
	v_div_scale_f32 v5, null, s13, s13, v4
	v_div_scale_f32 v13, vcc_lo, v4, s13, v4
	v_rcp_f32_e32 v11, v5
	v_nop
	s_delay_alu instid0(TRANS32_DEP_1) | instskip(NEXT) | instid1(VALU_DEP_1)
	v_fma_f32 v12, -v5, v11, 1.0
	v_fmac_f32_e32 v11, v12, v11
	s_delay_alu instid0(VALU_DEP_1) | instskip(NEXT) | instid1(VALU_DEP_1)
	v_mul_f32_e32 v12, v13, v11
	v_fma_f32 v14, -v5, v12, v13
	s_delay_alu instid0(VALU_DEP_1) | instskip(NEXT) | instid1(VALU_DEP_1)
	v_fmac_f32_e32 v12, v14, v11
	v_fma_f32 v5, -v5, v12, v13
	s_delay_alu instid0(VALU_DEP_1) | instskip(NEXT) | instid1(VALU_DEP_1)
	v_div_fmas_f32 v5, v5, v11, v12
	v_div_fixup_f32 v4, v5, s13, v4
	v_mov_b32_e32 v5, 0
	ds_store_b32 v5, v4 offset:132
.LBB15_10:
	s_or_b32 exec_lo, exec_lo, s16
	s_bfe_u32 s16, ttmp6, 0x4000c
	s_and_b32 s17, ttmp6, 15
	s_add_co_i32 s16, s16, 1
	v_mov_b32_e32 v11, 0
	s_mul_i32 s16, ttmp9, s16
	s_wait_dscnt 0x0
	s_add_co_i32 s17, s17, s16
	s_cmp_eq_u32 s15, 0
	s_barrier_signal -1
	s_cselect_b32 s15, ttmp9, s17
	s_and_b32 s12, 0xffff, s12
	s_mul_i32 s11, s11, s15
	s_barrier_wait -1
	s_and_saveexec_b32 s15, s2
	s_cbranch_execz .LBB15_14
; %bb.11:
	v_dual_mov_b32 v11, 0 :: v_dual_mov_b32 v12, v0
	s_lshr_b32 s17, s11, 1
	s_mov_b32 s16, 0
	ds_load_b32 v4, v11 offset:132
	s_wait_dscnt 0x0
	v_mov_b32_e32 v5, v4
.LBB15_12:                              ; =>This Inner Loop Header: Depth=1
	v_dual_add_nc_u32 v13, s17, v12 :: v_dual_add_nc_u32 v12, s12, v12
	global_load_b32 v13, v13, s[8:9] scale_offset
	v_cmp_le_i32_e32 vcc_lo, s14, v12
	s_or_b32 s16, vcc_lo, s16
	s_wait_loadcnt 0x0
	v_lshrrev_b32_e32 v15, 16, v13
	v_cvt_f32_f16_e32 v14, v13
	s_delay_alu instid0(VALU_DEP_2) | instskip(NEXT) | instid1(VALU_DEP_1)
	v_cvt_f32_f16_e32 v15, v15
	v_pk_add_f32 v[14:15], v[14:15], v[4:5] neg_lo:[0,1] neg_hi:[0,1]
	s_delay_alu instid0(VALU_DEP_1) | instskip(NEXT) | instid1(VALU_DEP_1)
	v_pk_mul_f32 v[14:15], v[14:15], v[14:15]
	v_add_f32_e32 v11, v11, v14
	s_delay_alu instid0(VALU_DEP_1)
	v_add_f32_e32 v11, v11, v15
	s_and_not1_b32 exec_lo, exec_lo, s16
	s_cbranch_execnz .LBB15_12
; %bb.13:
	s_or_b32 exec_lo, exec_lo, s16
.LBB15_14:
	s_delay_alu instid0(SALU_CYCLE_1)
	s_or_b32 exec_lo, exec_lo, s15
	ds_bpermute_b32 v4, v1, v11
	s_wait_dscnt 0x0
	v_add_f32_e32 v4, v11, v4
	ds_bpermute_b32 v5, v6, v4
	s_wait_dscnt 0x0
	v_add_f32_e32 v4, v4, v5
	;; [unrolled: 3-line block ×4, first 2 shown]
	ds_bpermute_b32 v5, v8, v4
	s_and_saveexec_b32 s15, s3
	s_cbranch_execz .LBB15_16
; %bb.15:
	s_wait_dscnt 0x0
	v_add_f32_e32 v4, v4, v5
	ds_store_b32 v9, v4
.LBB15_16:
	s_or_b32 exec_lo, exec_lo, s15
	v_mov_b32_e32 v4, 0
	s_wait_dscnt 0x0
	s_barrier_signal -1
	s_barrier_wait -1
	s_and_saveexec_b32 s3, s0
; %bb.17:
	ds_load_b32 v4, v10
; %bb.18:
	s_or_b32 exec_lo, exec_lo, s3
	s_wait_dscnt 0x0
	ds_bpermute_b32 v1, v1, v4
	s_wait_dscnt 0x0
	v_add_f32_e32 v1, v4, v1
	ds_bpermute_b32 v4, v6, v1
	s_wait_dscnt 0x0
	v_add_f32_e32 v1, v1, v4
	ds_bpermute_b32 v3, v3, v1
	s_wait_dscnt 0x0
	v_add_f32_e32 v1, v1, v3
	ds_bpermute_b32 v3, v7, v1
	s_wait_dscnt 0x0
	v_add_f32_e32 v1, v1, v3
	ds_bpermute_b32 v3, v8, v1
	s_and_saveexec_b32 s0, s1
	s_cbranch_execz .LBB15_20
; %bb.19:
	s_wait_dscnt 0x0
	v_add_f32_e32 v1, v1, v3
	s_delay_alu instid0(VALU_DEP_1) | instskip(SKIP_1) | instid1(VALU_DEP_2)
	v_div_scale_f32 v3, null, s13, s13, v1
	v_div_scale_f32 v6, vcc_lo, v1, s13, v1
	v_rcp_f32_e32 v4, v3
	v_nop
	s_delay_alu instid0(TRANS32_DEP_1) | instskip(NEXT) | instid1(VALU_DEP_1)
	v_fma_f32 v5, -v3, v4, 1.0
	v_fmac_f32_e32 v4, v5, v4
	s_delay_alu instid0(VALU_DEP_1) | instskip(NEXT) | instid1(VALU_DEP_1)
	v_mul_f32_e32 v5, v6, v4
	v_fma_f32 v7, -v3, v5, v6
	s_delay_alu instid0(VALU_DEP_1) | instskip(NEXT) | instid1(VALU_DEP_1)
	v_fmac_f32_e32 v5, v7, v4
	v_fma_f32 v3, -v3, v5, v6
	s_delay_alu instid0(VALU_DEP_1) | instskip(NEXT) | instid1(VALU_DEP_1)
	v_div_fmas_f32 v3, v3, v4, v5
	v_div_fixup_f32 v1, v3, s13, v1
	s_delay_alu instid0(VALU_DEP_1) | instskip(NEXT) | instid1(VALU_DEP_1)
	v_add_f32_e32 v1, s10, v1
	v_mul_f32_e32 v3, 0x4b800000, v1
	v_cmp_gt_f32_e32 vcc_lo, 0x800000, v1
	s_delay_alu instid0(VALU_DEP_2) | instskip(NEXT) | instid1(VALU_DEP_1)
	v_cndmask_b32_e32 v1, v1, v3, vcc_lo
	v_rsq_f32_e32 v1, v1
	v_nop
	s_delay_alu instid0(TRANS32_DEP_1) | instskip(NEXT) | instid1(VALU_DEP_1)
	v_mul_f32_e32 v3, 0x45800000, v1
	v_dual_cndmask_b32 v1, v1, v3, vcc_lo :: v_dual_mov_b32 v3, 0
	ds_store_b32 v3, v1 offset:128
.LBB15_20:
	s_or_b32 exec_lo, exec_lo, s0
	s_wait_dscnt 0x0
	s_barrier_signal -1
	s_barrier_wait -1
	s_and_saveexec_b32 s0, s2
	s_cbranch_execz .LBB15_23
; %bb.21:
	v_mov_b32_e32 v3, 0
	s_mov_b32 s1, 0
	s_lshr_b32 s2, s11, 1
	s_lshl_b32 s0, s12, 2
	s_mov_b32 s3, s1
	ds_load_b64 v[4:5], v3 offset:128
	s_wait_dscnt 0x0
	v_dual_mov_b32 v6, v5 :: v_dual_mov_b32 v7, v5
	v_mov_b32_e32 v5, v4
.LBB15_22:                              ; =>This Inner Loop Header: Depth=1
	v_add_nc_u32_e32 v1, s2, v0
	v_add_nc_u64_e32 v[8:9], s[4:5], v[2:3]
	v_add_nc_u64_e32 v[10:11], s[6:7], v[2:3]
	v_add_nc_u32_e32 v0, s12, v0
	v_add_nc_u64_e32 v[2:3], s[0:1], v[2:3]
	global_load_b32 v12, v1, s[8:9] scale_offset
	global_load_b32 v13, v[8:9], off
	global_load_b32 v14, v[10:11], off
	v_cmp_le_i32_e32 vcc_lo, s14, v0
	s_or_b32 s3, vcc_lo, s3
	s_wait_loadcnt 0x2
	s_wait_xcnt 0x1
	v_lshrrev_b32_e32 v9, 16, v12
	v_cvt_f32_f16_e32 v8, v12
	s_wait_loadcnt 0x0
	s_wait_xcnt 0x0
	v_dual_lshrrev_b32 v11, 16, v13 :: v_dual_lshrrev_b32 v15, 16, v14
	v_cvt_f32_f16_e32 v10, v13
	v_cvt_f32_f16_e32 v9, v9
	v_cvt_f32_f16_e32 v12, v14
	s_delay_alu instid0(VALU_DEP_4) | instskip(SKIP_1) | instid1(VALU_DEP_4)
	v_cvt_f32_f16_e32 v11, v11
	v_cvt_f32_f16_e32 v13, v15
	v_pk_add_f32 v[8:9], v[8:9], v[6:7] neg_lo:[0,1] neg_hi:[0,1]
	s_delay_alu instid0(VALU_DEP_1) | instskip(NEXT) | instid1(VALU_DEP_1)
	v_pk_mul_f32 v[8:9], v[8:9], v[4:5]
	v_pk_fma_f32 v[8:9], v[8:9], v[10:11], v[12:13]
	s_delay_alu instid0(VALU_DEP_1)
	v_cvt_pk_f16_f32 v8, v8, v9
	global_store_b32 v1, v8, s[8:9] scale_offset
	s_wait_xcnt 0x0
	s_and_not1_b32 exec_lo, exec_lo, s3
	s_cbranch_execnz .LBB15_22
.LBB15_23:
	s_endpgm
	.section	.rodata,"a",@progbits
	.p2align	6, 0x0
	.amdhsa_kernel _Z35generalAddBiasResidualPostLayerNormI6__halfLi32EEvPT_PKS1_S4_S4_S4_fi
		.amdhsa_group_segment_fixed_size 136
		.amdhsa_private_segment_fixed_size 0
		.amdhsa_kernarg_size 304
		.amdhsa_user_sgpr_count 2
		.amdhsa_user_sgpr_dispatch_ptr 0
		.amdhsa_user_sgpr_queue_ptr 0
		.amdhsa_user_sgpr_kernarg_segment_ptr 1
		.amdhsa_user_sgpr_dispatch_id 0
		.amdhsa_user_sgpr_kernarg_preload_length 0
		.amdhsa_user_sgpr_kernarg_preload_offset 0
		.amdhsa_user_sgpr_private_segment_size 0
		.amdhsa_wavefront_size32 1
		.amdhsa_uses_dynamic_stack 0
		.amdhsa_enable_private_segment 0
		.amdhsa_system_sgpr_workgroup_id_x 1
		.amdhsa_system_sgpr_workgroup_id_y 0
		.amdhsa_system_sgpr_workgroup_id_z 0
		.amdhsa_system_sgpr_workgroup_info 0
		.amdhsa_system_vgpr_workitem_id 0
		.amdhsa_next_free_vgpr 16
		.amdhsa_next_free_sgpr 18
		.amdhsa_named_barrier_count 0
		.amdhsa_reserve_vcc 1
		.amdhsa_float_round_mode_32 0
		.amdhsa_float_round_mode_16_64 0
		.amdhsa_float_denorm_mode_32 3
		.amdhsa_float_denorm_mode_16_64 3
		.amdhsa_fp16_overflow 0
		.amdhsa_memory_ordered 1
		.amdhsa_forward_progress 1
		.amdhsa_inst_pref_size 14
		.amdhsa_round_robin_scheduling 0
		.amdhsa_exception_fp_ieee_invalid_op 0
		.amdhsa_exception_fp_denorm_src 0
		.amdhsa_exception_fp_ieee_div_zero 0
		.amdhsa_exception_fp_ieee_overflow 0
		.amdhsa_exception_fp_ieee_underflow 0
		.amdhsa_exception_fp_ieee_inexact 0
		.amdhsa_exception_int_div_zero 0
	.end_amdhsa_kernel
	.section	.text._Z35generalAddBiasResidualPostLayerNormI6__halfLi32EEvPT_PKS1_S4_S4_S4_fi,"axG",@progbits,_Z35generalAddBiasResidualPostLayerNormI6__halfLi32EEvPT_PKS1_S4_S4_S4_fi,comdat
.Lfunc_end15:
	.size	_Z35generalAddBiasResidualPostLayerNormI6__halfLi32EEvPT_PKS1_S4_S4_S4_fi, .Lfunc_end15-_Z35generalAddBiasResidualPostLayerNormI6__halfLi32EEvPT_PKS1_S4_S4_S4_fi
                                        ; -- End function
	.set _Z35generalAddBiasResidualPostLayerNormI6__halfLi32EEvPT_PKS1_S4_S4_S4_fi.num_vgpr, 16
	.set _Z35generalAddBiasResidualPostLayerNormI6__halfLi32EEvPT_PKS1_S4_S4_S4_fi.num_agpr, 0
	.set _Z35generalAddBiasResidualPostLayerNormI6__halfLi32EEvPT_PKS1_S4_S4_S4_fi.numbered_sgpr, 18
	.set _Z35generalAddBiasResidualPostLayerNormI6__halfLi32EEvPT_PKS1_S4_S4_S4_fi.num_named_barrier, 0
	.set _Z35generalAddBiasResidualPostLayerNormI6__halfLi32EEvPT_PKS1_S4_S4_S4_fi.private_seg_size, 0
	.set _Z35generalAddBiasResidualPostLayerNormI6__halfLi32EEvPT_PKS1_S4_S4_S4_fi.uses_vcc, 1
	.set _Z35generalAddBiasResidualPostLayerNormI6__halfLi32EEvPT_PKS1_S4_S4_S4_fi.uses_flat_scratch, 0
	.set _Z35generalAddBiasResidualPostLayerNormI6__halfLi32EEvPT_PKS1_S4_S4_S4_fi.has_dyn_sized_stack, 0
	.set _Z35generalAddBiasResidualPostLayerNormI6__halfLi32EEvPT_PKS1_S4_S4_S4_fi.has_recursion, 0
	.set _Z35generalAddBiasResidualPostLayerNormI6__halfLi32EEvPT_PKS1_S4_S4_S4_fi.has_indirect_call, 0
	.section	.AMDGPU.csdata,"",@progbits
; Kernel info:
; codeLenInByte = 1708
; TotalNumSgprs: 20
; NumVgprs: 16
; ScratchSize: 0
; MemoryBound: 0
; FloatMode: 240
; IeeeMode: 1
; LDSByteSize: 136 bytes/workgroup (compile time only)
; SGPRBlocks: 0
; VGPRBlocks: 0
; NumSGPRsForWavesPerEU: 20
; NumVGPRsForWavesPerEU: 16
; NamedBarCnt: 0
; Occupancy: 16
; WaveLimiterHint : 0
; COMPUTE_PGM_RSRC2:SCRATCH_EN: 0
; COMPUTE_PGM_RSRC2:USER_SGPR: 2
; COMPUTE_PGM_RSRC2:TRAP_HANDLER: 0
; COMPUTE_PGM_RSRC2:TGID_X_EN: 1
; COMPUTE_PGM_RSRC2:TGID_Y_EN: 0
; COMPUTE_PGM_RSRC2:TGID_Z_EN: 0
; COMPUTE_PGM_RSRC2:TIDIG_COMP_CNT: 0
	.section	.text._Z30addBiasResidualPostLayerNormV2I14__hip_bfloat16Li64EEvPT_PKS1_S4_S4_S4_fi,"axG",@progbits,_Z30addBiasResidualPostLayerNormV2I14__hip_bfloat16Li64EEvPT_PKS1_S4_S4_S4_fi,comdat
	.protected	_Z30addBiasResidualPostLayerNormV2I14__hip_bfloat16Li64EEvPT_PKS1_S4_S4_S4_fi ; -- Begin function _Z30addBiasResidualPostLayerNormV2I14__hip_bfloat16Li64EEvPT_PKS1_S4_S4_S4_fi
	.globl	_Z30addBiasResidualPostLayerNormV2I14__hip_bfloat16Li64EEvPT_PKS1_S4_S4_S4_fi
	.p2align	8
	.type	_Z30addBiasResidualPostLayerNormV2I14__hip_bfloat16Li64EEvPT_PKS1_S4_S4_S4_fi,@function
_Z30addBiasResidualPostLayerNormV2I14__hip_bfloat16Li64EEvPT_PKS1_S4_S4_S4_fi: ; @_Z30addBiasResidualPostLayerNormV2I14__hip_bfloat16Li64EEvPT_PKS1_S4_S4_S4_fi
; %bb.0:
	s_clause 0x3
	s_load_b32 s4, s[0:1], 0x3c
	s_load_b64 s[6:7], s[0:1], 0x28
	s_load_b128 s[8:11], s[0:1], 0x0
	s_load_b64 s[2:3], s[0:1], 0x10
	s_bfe_u32 s5, ttmp6, 0x4000c
	s_and_b32 s12, ttmp6, 15
	s_add_co_i32 s5, s5, 1
	s_getreg_b32 s13, hwreg(HW_REG_IB_STS2, 6, 4)
	s_mul_i32 s5, ttmp9, s5
	v_dual_mov_b32 v3, 0 :: v_dual_lshlrev_b32 v2, 2, v0
	s_add_co_i32 s12, s12, s5
	s_wait_kmcnt 0x0
	s_and_b32 s14, s4, 0xffff
	s_cmp_eq_u32 s13, 0
	v_add_nc_u64_e32 v[6:7], s[2:3], v[2:3]
	s_cselect_b32 s4, ttmp9, s12
	s_delay_alu instid0(SALU_CYCLE_1) | instskip(NEXT) | instid1(SALU_CYCLE_1)
	s_mul_i32 s4, s7, s4
	s_lshr_b32 s5, s4, 31
	s_delay_alu instid0(SALU_CYCLE_1) | instskip(SKIP_2) | instid1(SALU_CYCLE_1)
	s_add_co_i32 s4, s4, s5
	s_mov_b32 s5, 0
	s_ashr_i32 s4, s4, 1
	v_add_nc_u32_e32 v4, s4, v0
	s_lshl_b32 s4, s14, 2
	s_delay_alu instid0(SALU_CYCLE_1) | instskip(NEXT) | instid1(VALU_DEP_2)
	v_add_nc_u64_e32 v[6:7], s[4:5], v[6:7]
	v_add_nc_u32_e32 v1, s14, v4
	s_delay_alu instid0(VALU_DEP_2) | instskip(NEXT) | instid1(VALU_DEP_2)
	v_add_nc_u64_e32 v[8:9], s[4:5], v[6:7]
	v_add_nc_u32_e32 v12, s14, v1
	s_clause 0x1
	global_load_b32 v5, v4, s[8:9] scale_offset
	global_load_b32 v10, v4, s[10:11] scale_offset
	;; [unrolled: 1-line block ×3, first 2 shown]
	s_clause 0x1
	global_load_b32 v13, v1, s[8:9] scale_offset
	global_load_b32 v14, v1, s[10:11] scale_offset
	global_load_b32 v1, v[6:7], off
	s_clause 0x1
	global_load_b32 v15, v12, s[8:9] scale_offset
	global_load_b32 v16, v12, s[10:11] scale_offset
	s_wait_xcnt 0x0
	v_add_nc_u32_e32 v12, s14, v12
	v_add_nc_u64_e32 v[6:7], s[4:5], v[8:9]
	global_load_b32 v17, v[8:9], off
	s_add_nc_u64 s[4:5], s[0:1], 48
	s_clause 0x1
	global_load_b32 v18, v12, s[8:9] scale_offset
	global_load_b32 v19, v12, s[10:11] scale_offset
	global_load_b32 v20, v[6:7], off
	s_wait_loadcnt 0xa
	v_pk_add_bf16 v5, v5, v10
	s_wait_loadcnt 0x9
	s_wait_xcnt 0x3
	s_delay_alu instid0(VALU_DEP_1)
	v_pk_add_bf16 v8, v5, v11
	s_wait_loadcnt 0x7
	v_pk_add_bf16 v5, v13, v14
	v_mbcnt_lo_u32_b32 v13, -1, 0
	s_wait_xcnt 0x0
	v_pk_add_bf16 v6, v8, 0
	s_wait_loadcnt 0x6
	v_pk_add_bf16 v9, v5, v1
	s_wait_loadcnt 0x4
	v_pk_add_bf16 v1, v15, v16
	v_or_b32_e32 v7, 32, v13
	v_xor_b32_e32 v16, 1, v13
	v_pk_add_bf16 v5, v6, v9
	s_wait_loadcnt 0x3
	v_pk_add_bf16 v11, v1, v17
	s_wait_loadcnt 0x1
	v_pk_add_bf16 v1, v18, v19
	v_cmp_gt_i32_e32 vcc_lo, 64, v7
	s_delay_alu instid0(VALU_DEP_3) | instskip(SKIP_1) | instid1(VALU_DEP_3)
	v_pk_add_bf16 v6, v5, v11
	s_wait_loadcnt 0x0
	v_pk_add_bf16 v5, v1, v20
	s_delay_alu instid0(VALU_DEP_1) | instskip(NEXT) | instid1(VALU_DEP_1)
	v_pk_add_bf16 v1, v6, v5
	v_and_b32_e32 v6, 0xffff0000, v1
	v_lshlrev_b32_e32 v1, 16, v1
	s_delay_alu instid0(VALU_DEP_1) | instskip(SKIP_1) | instid1(VALU_DEP_2)
	v_add_f32_e32 v1, v1, v6
	v_cndmask_b32_e32 v6, v13, v7, vcc_lo
	v_cvt_pk_bf16_f32 v7, v1, s0
	s_delay_alu instid0(VALU_DEP_2) | instskip(NEXT) | instid1(VALU_DEP_2)
	v_dual_lshlrev_b32 v1, 2, v6 :: v_dual_bitop2_b32 v6, 16, v13 bitop3:0x14
	v_lshlrev_b32_e32 v7, 16, v7
	s_delay_alu instid0(VALU_DEP_2) | instskip(SKIP_4) | instid1(VALU_DEP_1)
	v_cmp_gt_i32_e32 vcc_lo, 64, v6
	ds_bpermute_b32 v10, v1, v7
	v_cndmask_b32_e32 v6, v13, v6, vcc_lo
	s_wait_dscnt 0x0
	v_dual_add_f32 v10, v7, v10 :: v_dual_bitop2_b32 v7, 8, v13 bitop3:0x14
	v_cmp_gt_i32_e32 vcc_lo, 64, v7
	s_delay_alu instid0(VALU_DEP_3)
	v_dual_cndmask_b32 v7, v13, v7 :: v_dual_lshlrev_b32 v6, 2, v6
	ds_bpermute_b32 v12, v6, v10
	s_wait_dscnt 0x0
	v_dual_add_f32 v12, v10, v12 :: v_dual_lshlrev_b32 v7, 2, v7
	ds_bpermute_b32 v14, v7, v12
	s_wait_dscnt 0x0
	v_dual_add_f32 v14, v12, v14 :: v_dual_bitop2_b32 v10, 4, v13 bitop3:0x14
	s_delay_alu instid0(VALU_DEP_1) | instskip(SKIP_1) | instid1(VALU_DEP_1)
	v_cmp_gt_i32_e32 vcc_lo, 64, v10
	v_dual_cndmask_b32 v10, v13, v10, vcc_lo :: v_dual_bitop2_b32 v12, 2, v13 bitop3:0x14
	v_cmp_gt_i32_e32 vcc_lo, 64, v12
	s_delay_alu instid0(VALU_DEP_2)
	v_dual_lshlrev_b32 v10, 2, v10 :: v_dual_cndmask_b32 v12, v13, v12, vcc_lo
	v_cmp_gt_i32_e32 vcc_lo, 64, v16
	ds_bpermute_b32 v15, v10, v14
	s_wait_dscnt 0x0
	v_dual_lshlrev_b32 v12, 2, v12 :: v_dual_add_f32 v14, v14, v15
	ds_bpermute_b32 v15, v12, v14
	s_wait_dscnt 0x0
	v_dual_cndmask_b32 v13, v13, v16 :: v_dual_add_f32 v16, v14, v15
	s_delay_alu instid0(VALU_DEP_1)
	v_dual_lshlrev_b32 v14, 2, v13 :: v_dual_bitop2_b32 v13, 63, v0 bitop3:0x40
	v_lshrrev_b32_e32 v15, 4, v0
	ds_bpermute_b32 v17, v14, v16
	v_cmp_eq_u32_e64 s2, 0, v13
	s_and_saveexec_b32 s3, s2
	s_cbranch_execz .LBB16_2
; %bb.1:
	s_wait_dscnt 0x0
	v_add_f32_e32 v16, v16, v17
	ds_store_b32 v15, v16
.LBB16_2:
	s_or_b32 exec_lo, exec_lo, s3
	s_wait_dscnt 0x0
	s_barrier_signal -1
	s_barrier_wait -1
	s_load_b32 s5, s[4:5], 0xc
	v_lshlrev_b32_e32 v16, 2, v13
	s_wait_kmcnt 0x0
	s_bfe_u32 s3, s5, 0xa0006
	s_delay_alu instid0(SALU_CYCLE_1)
	v_cmp_gt_u32_e64 s3, s3, v0
	s_and_saveexec_b32 s4, s3
; %bb.3:
	ds_load_b32 v3, v16
; %bb.4:
	s_or_b32 exec_lo, exec_lo, s4
	s_wait_dscnt 0x0
	ds_bpermute_b32 v13, v1, v3
	v_cmp_eq_u32_e64 s4, 0, v0
	s_cvt_f32_i32 s7, s7
	s_wait_dscnt 0x0
	v_add_f32_e32 v3, v3, v13
	ds_bpermute_b32 v13, v6, v3
	s_wait_dscnt 0x0
	v_add_f32_e32 v3, v3, v13
	ds_bpermute_b32 v13, v7, v3
	;; [unrolled: 3-line block ×5, first 2 shown]
	s_and_saveexec_b32 s10, s4
	s_cbranch_execz .LBB16_6
; %bb.5:
	s_wait_dscnt 0x0
	v_add_f32_e32 v3, v3, v13
	s_delay_alu instid0(VALU_DEP_1) | instskip(SKIP_1) | instid1(VALU_DEP_2)
	v_div_scale_f32 v13, null, s7, s7, v3
	v_div_scale_f32 v19, vcc_lo, v3, s7, v3
	v_rcp_f32_e32 v17, v13
	v_nop
	s_delay_alu instid0(TRANS32_DEP_1) | instskip(NEXT) | instid1(VALU_DEP_1)
	v_fma_f32 v18, -v13, v17, 1.0
	v_fmac_f32_e32 v17, v18, v17
	s_delay_alu instid0(VALU_DEP_1) | instskip(NEXT) | instid1(VALU_DEP_1)
	v_mul_f32_e32 v18, v19, v17
	v_fma_f32 v20, -v13, v18, v19
	s_delay_alu instid0(VALU_DEP_1) | instskip(NEXT) | instid1(VALU_DEP_1)
	v_fmac_f32_e32 v18, v20, v17
	v_fma_f32 v13, -v13, v18, v19
	s_delay_alu instid0(VALU_DEP_1) | instskip(NEXT) | instid1(VALU_DEP_1)
	v_div_fmas_f32 v13, v13, v17, v18
	v_div_fixup_f32 v3, v13, s7, v3
	v_mov_b32_e32 v13, 0
	ds_store_b32 v13, v3 offset:68
.LBB16_6:
	s_or_b32 exec_lo, exec_lo, s10
	v_mov_b32_e32 v3, 0
	s_wait_dscnt 0x0
	s_barrier_signal -1
	s_barrier_wait -1
	ds_load_b32 v13, v3 offset:68
	s_wait_dscnt 0x0
	v_cvt_pk_bf16_f32 v13, v13, s0
	s_delay_alu instid0(VALU_DEP_1) | instskip(SKIP_3) | instid1(VALU_DEP_4)
	v_pk_add_bf16 v8, v8, v13 op_sel_hi:[1,0] neg_lo:[0,1] neg_hi:[0,1]
	v_pk_add_bf16 v9, v9, v13 op_sel_hi:[1,0] neg_lo:[0,1] neg_hi:[0,1]
	;; [unrolled: 1-line block ×4, first 2 shown]
	v_and_b32_e32 v17, 0xffff0000, v8
	s_delay_alu instid0(VALU_DEP_4) | instskip(NEXT) | instid1(VALU_DEP_4)
	v_and_b32_e32 v18, 0xffff0000, v9
	v_and_b32_e32 v19, 0xffff0000, v11
	s_delay_alu instid0(VALU_DEP_2) | instskip(NEXT) | instid1(VALU_DEP_2)
	v_dual_mul_f32 v17, v17, v17 :: v_dual_mul_f32 v18, v18, v18
	v_mul_f32_e32 v5, v19, v19
	v_and_b32_e32 v19, 0xffff0000, v13
	s_delay_alu instid0(VALU_DEP_3) | instskip(NEXT) | instid1(VALU_DEP_4)
	v_fma_mix_f32_bf16 v17, v8, v8, v17 op_sel_hi:[1,1,0]
	v_fma_mix_f32_bf16 v18, v9, v9, v18 op_sel_hi:[1,1,0]
	s_delay_alu instid0(VALU_DEP_4) | instskip(NEXT) | instid1(VALU_DEP_2)
	v_fma_mix_f32_bf16 v5, v11, v11, v5 op_sel_hi:[1,1,0]
	v_dual_add_f32 v17, v17, v18 :: v_dual_mul_f32 v18, v19, v19
	s_delay_alu instid0(VALU_DEP_1) | instskip(NEXT) | instid1(VALU_DEP_2)
	v_add_f32_e32 v5, v17, v5
	v_fma_mix_f32_bf16 v17, v13, v13, v18 op_sel_hi:[1,1,0]
	s_delay_alu instid0(VALU_DEP_1)
	v_add_f32_e32 v5, v5, v17
	ds_bpermute_b32 v17, v1, v5
	s_wait_dscnt 0x0
	v_add_f32_e32 v5, v5, v17
	ds_bpermute_b32 v17, v6, v5
	s_wait_dscnt 0x0
	;; [unrolled: 3-line block ×5, first 2 shown]
	v_dual_add_f32 v17, v5, v17 :: v_dual_ashrrev_i32 v5, 31, v4
	ds_bpermute_b32 v18, v14, v17
	s_and_saveexec_b32 s10, s2
	s_cbranch_execz .LBB16_8
; %bb.7:
	s_wait_dscnt 0x0
	v_add_f32_e32 v17, v17, v18
	ds_store_b32 v15, v17
.LBB16_8:
	s_or_b32 exec_lo, exec_lo, s10
	s_load_b128 s[12:15], s[0:1], 0x18
	s_wait_dscnt 0x0
	s_barrier_signal -1
	s_barrier_wait -1
	s_wait_xcnt 0x0
	s_and_saveexec_b32 s0, s3
; %bb.9:
	ds_load_b32 v3, v16
; %bb.10:
	s_or_b32 exec_lo, exec_lo, s0
	s_wait_dscnt 0x0
	ds_bpermute_b32 v1, v1, v3
	s_wait_dscnt 0x0
	v_add_f32_e32 v1, v3, v1
	ds_bpermute_b32 v3, v6, v1
	s_wait_dscnt 0x0
	v_add_f32_e32 v1, v1, v3
	ds_bpermute_b32 v3, v7, v1
	v_lshl_add_u64 v[6:7], v[4:5], 2, s[8:9]
	s_wait_dscnt 0x0
	v_add_f32_e32 v1, v1, v3
	ds_bpermute_b32 v3, v10, v1
	s_wait_dscnt 0x0
	v_add_f32_e32 v1, v1, v3
	ds_bpermute_b32 v3, v12, v1
	;; [unrolled: 3-line block ×3, first 2 shown]
	s_and_saveexec_b32 s0, s4
	s_cbranch_execz .LBB16_12
; %bb.11:
	s_wait_dscnt 0x0
	v_add_f32_e32 v1, v1, v3
	s_delay_alu instid0(VALU_DEP_1) | instskip(NEXT) | instid1(VALU_DEP_1)
	v_div_scale_f32 v3, null, s7, s7, v1
	v_rcp_f32_e32 v5, v3
	v_nop
	s_delay_alu instid0(TRANS32_DEP_1) | instskip(NEXT) | instid1(VALU_DEP_1)
	v_fma_f32 v10, -v3, v5, 1.0
	v_fmac_f32_e32 v5, v10, v5
	v_div_scale_f32 v12, vcc_lo, v1, s7, v1
	s_delay_alu instid0(VALU_DEP_1) | instskip(NEXT) | instid1(VALU_DEP_1)
	v_mul_f32_e32 v10, v12, v5
	v_fma_f32 v14, -v3, v10, v12
	s_delay_alu instid0(VALU_DEP_1) | instskip(NEXT) | instid1(VALU_DEP_1)
	v_fmac_f32_e32 v10, v14, v5
	v_fma_f32 v3, -v3, v10, v12
	s_delay_alu instid0(VALU_DEP_1) | instskip(NEXT) | instid1(VALU_DEP_1)
	v_div_fmas_f32 v3, v3, v5, v10
	v_div_fixup_f32 v1, v3, s7, v1
	s_delay_alu instid0(VALU_DEP_1) | instskip(NEXT) | instid1(VALU_DEP_1)
	v_add_f32_e32 v1, s6, v1
	v_mul_f32_e32 v3, 0x4b800000, v1
	v_cmp_gt_f32_e32 vcc_lo, 0x800000, v1
	s_delay_alu instid0(VALU_DEP_2) | instskip(NEXT) | instid1(VALU_DEP_1)
	v_cndmask_b32_e32 v1, v1, v3, vcc_lo
	v_rsq_f32_e32 v1, v1
	v_nop
	s_delay_alu instid0(TRANS32_DEP_1) | instskip(NEXT) | instid1(VALU_DEP_1)
	v_mul_f32_e32 v3, 0x45800000, v1
	v_dual_cndmask_b32 v1, v1, v3, vcc_lo :: v_dual_mov_b32 v3, 0
	ds_store_b32 v3, v1 offset:64
.LBB16_12:
	s_or_b32 exec_lo, exec_lo, s0
	s_and_b32 s2, 0xffff, s5
	s_wait_dscnt 0x0
	v_mov_b32_e32 v3, 0
	s_mov_b32 s1, 0
	s_lshl_b32 s0, s2, 2
	s_barrier_signal -1
	s_wait_kmcnt 0x0
	v_add_nc_u64_e32 v[14:15], s[12:13], v[2:3]
	v_add_nc_u64_e32 v[16:17], s[14:15], v[2:3]
	s_barrier_wait -1
	s_delay_alu instid0(VALU_DEP_2) | instskip(NEXT) | instid1(VALU_DEP_2)
	v_add_nc_u64_e32 v[14:15], s[0:1], v[14:15]
	v_add_nc_u64_e32 v[16:17], s[0:1], v[16:17]
	s_delay_alu instid0(VALU_DEP_2) | instskip(NEXT) | instid1(VALU_DEP_2)
	v_add_nc_u64_e32 v[18:19], s[0:1], v[14:15]
	v_add_nc_u64_e32 v[20:21], s[0:1], v[16:17]
	;; [unrolled: 3-line block ×3, first 2 shown]
	s_clause 0x1
	global_load_b32 v1, v0, s[12:13] scale_offset
	global_load_b32 v2, v0, s[14:15] scale_offset
	global_load_b32 v5, v[14:15], off
	global_load_b32 v10, v[16:17], off
	;; [unrolled: 1-line block ×6, first 2 shown]
	s_wait_xcnt 0x6
	ds_load_b32 v0, v3 offset:64
	v_add_nc_u32_e32 v3, s2, v4
	s_wait_dscnt 0x0
	v_cvt_pk_bf16_f32 v0, v0, s0
	s_delay_alu instid0(VALU_DEP_1)
	v_pk_mul_bf16 v4, v0, v8 op_sel_hi:[0,1]
	v_pk_mul_bf16 v8, v0, v9 op_sel_hi:[0,1]
	;; [unrolled: 1-line block ×3, first 2 shown]
	v_add_nc_u32_e32 v11, s2, v3
	v_pk_mul_bf16 v0, v0, v13 op_sel_hi:[0,1]
	s_wait_loadcnt 0x6
	v_pk_fma_bf16 v1, v4, v1, v2
	s_wait_loadcnt 0x4
	v_pk_fma_bf16 v2, v8, v5, v10
	v_add_nc_u32_e32 v5, s2, v11
	s_wait_loadcnt 0x2
	v_pk_fma_bf16 v4, v9, v12, v26
	s_wait_loadcnt 0x0
	v_pk_fma_bf16 v0, v0, v27, v28
	s_clause 0x3
	global_store_b32 v[6:7], v1, off
	global_store_b32 v3, v2, s[8:9] scale_offset
	global_store_b32 v11, v4, s[8:9] scale_offset
	;; [unrolled: 1-line block ×3, first 2 shown]
	s_endpgm
	.section	.rodata,"a",@progbits
	.p2align	6, 0x0
	.amdhsa_kernel _Z30addBiasResidualPostLayerNormV2I14__hip_bfloat16Li64EEvPT_PKS1_S4_S4_S4_fi
		.amdhsa_group_segment_fixed_size 72
		.amdhsa_private_segment_fixed_size 0
		.amdhsa_kernarg_size 304
		.amdhsa_user_sgpr_count 2
		.amdhsa_user_sgpr_dispatch_ptr 0
		.amdhsa_user_sgpr_queue_ptr 0
		.amdhsa_user_sgpr_kernarg_segment_ptr 1
		.amdhsa_user_sgpr_dispatch_id 0
		.amdhsa_user_sgpr_kernarg_preload_length 0
		.amdhsa_user_sgpr_kernarg_preload_offset 0
		.amdhsa_user_sgpr_private_segment_size 0
		.amdhsa_wavefront_size32 1
		.amdhsa_uses_dynamic_stack 0
		.amdhsa_enable_private_segment 0
		.amdhsa_system_sgpr_workgroup_id_x 1
		.amdhsa_system_sgpr_workgroup_id_y 0
		.amdhsa_system_sgpr_workgroup_id_z 0
		.amdhsa_system_sgpr_workgroup_info 0
		.amdhsa_system_vgpr_workitem_id 0
		.amdhsa_next_free_vgpr 29
		.amdhsa_next_free_sgpr 16
		.amdhsa_named_barrier_count 0
		.amdhsa_reserve_vcc 1
		.amdhsa_float_round_mode_32 0
		.amdhsa_float_round_mode_16_64 0
		.amdhsa_float_denorm_mode_32 3
		.amdhsa_float_denorm_mode_16_64 3
		.amdhsa_fp16_overflow 0
		.amdhsa_memory_ordered 1
		.amdhsa_forward_progress 1
		.amdhsa_inst_pref_size 17
		.amdhsa_round_robin_scheduling 0
		.amdhsa_exception_fp_ieee_invalid_op 0
		.amdhsa_exception_fp_denorm_src 0
		.amdhsa_exception_fp_ieee_div_zero 0
		.amdhsa_exception_fp_ieee_overflow 0
		.amdhsa_exception_fp_ieee_underflow 0
		.amdhsa_exception_fp_ieee_inexact 0
		.amdhsa_exception_int_div_zero 0
	.end_amdhsa_kernel
	.section	.text._Z30addBiasResidualPostLayerNormV2I14__hip_bfloat16Li64EEvPT_PKS1_S4_S4_S4_fi,"axG",@progbits,_Z30addBiasResidualPostLayerNormV2I14__hip_bfloat16Li64EEvPT_PKS1_S4_S4_S4_fi,comdat
.Lfunc_end16:
	.size	_Z30addBiasResidualPostLayerNormV2I14__hip_bfloat16Li64EEvPT_PKS1_S4_S4_S4_fi, .Lfunc_end16-_Z30addBiasResidualPostLayerNormV2I14__hip_bfloat16Li64EEvPT_PKS1_S4_S4_S4_fi
                                        ; -- End function
	.set _Z30addBiasResidualPostLayerNormV2I14__hip_bfloat16Li64EEvPT_PKS1_S4_S4_S4_fi.num_vgpr, 29
	.set _Z30addBiasResidualPostLayerNormV2I14__hip_bfloat16Li64EEvPT_PKS1_S4_S4_S4_fi.num_agpr, 0
	.set _Z30addBiasResidualPostLayerNormV2I14__hip_bfloat16Li64EEvPT_PKS1_S4_S4_S4_fi.numbered_sgpr, 16
	.set _Z30addBiasResidualPostLayerNormV2I14__hip_bfloat16Li64EEvPT_PKS1_S4_S4_S4_fi.num_named_barrier, 0
	.set _Z30addBiasResidualPostLayerNormV2I14__hip_bfloat16Li64EEvPT_PKS1_S4_S4_S4_fi.private_seg_size, 0
	.set _Z30addBiasResidualPostLayerNormV2I14__hip_bfloat16Li64EEvPT_PKS1_S4_S4_S4_fi.uses_vcc, 1
	.set _Z30addBiasResidualPostLayerNormV2I14__hip_bfloat16Li64EEvPT_PKS1_S4_S4_S4_fi.uses_flat_scratch, 0
	.set _Z30addBiasResidualPostLayerNormV2I14__hip_bfloat16Li64EEvPT_PKS1_S4_S4_S4_fi.has_dyn_sized_stack, 0
	.set _Z30addBiasResidualPostLayerNormV2I14__hip_bfloat16Li64EEvPT_PKS1_S4_S4_S4_fi.has_recursion, 0
	.set _Z30addBiasResidualPostLayerNormV2I14__hip_bfloat16Li64EEvPT_PKS1_S4_S4_S4_fi.has_indirect_call, 0
	.section	.AMDGPU.csdata,"",@progbits
; Kernel info:
; codeLenInByte = 2092
; TotalNumSgprs: 18
; NumVgprs: 29
; ScratchSize: 0
; MemoryBound: 0
; FloatMode: 240
; IeeeMode: 1
; LDSByteSize: 72 bytes/workgroup (compile time only)
; SGPRBlocks: 0
; VGPRBlocks: 1
; NumSGPRsForWavesPerEU: 18
; NumVGPRsForWavesPerEU: 29
; NamedBarCnt: 0
; Occupancy: 16
; WaveLimiterHint : 0
; COMPUTE_PGM_RSRC2:SCRATCH_EN: 0
; COMPUTE_PGM_RSRC2:USER_SGPR: 2
; COMPUTE_PGM_RSRC2:TRAP_HANDLER: 0
; COMPUTE_PGM_RSRC2:TGID_X_EN: 1
; COMPUTE_PGM_RSRC2:TGID_Y_EN: 0
; COMPUTE_PGM_RSRC2:TGID_Z_EN: 0
; COMPUTE_PGM_RSRC2:TIDIG_COMP_CNT: 0
	.section	.text._Z30addBiasResidualPostLayerNormV2I14__hip_bfloat16Li32EEvPT_PKS1_S4_S4_S4_fi,"axG",@progbits,_Z30addBiasResidualPostLayerNormV2I14__hip_bfloat16Li32EEvPT_PKS1_S4_S4_S4_fi,comdat
	.protected	_Z30addBiasResidualPostLayerNormV2I14__hip_bfloat16Li32EEvPT_PKS1_S4_S4_S4_fi ; -- Begin function _Z30addBiasResidualPostLayerNormV2I14__hip_bfloat16Li32EEvPT_PKS1_S4_S4_S4_fi
	.globl	_Z30addBiasResidualPostLayerNormV2I14__hip_bfloat16Li32EEvPT_PKS1_S4_S4_S4_fi
	.p2align	8
	.type	_Z30addBiasResidualPostLayerNormV2I14__hip_bfloat16Li32EEvPT_PKS1_S4_S4_S4_fi,@function
_Z30addBiasResidualPostLayerNormV2I14__hip_bfloat16Li32EEvPT_PKS1_S4_S4_S4_fi: ; @_Z30addBiasResidualPostLayerNormV2I14__hip_bfloat16Li32EEvPT_PKS1_S4_S4_S4_fi
; %bb.0:
	s_clause 0x1
	s_load_b32 s2, s[0:1], 0x3c
	s_load_b64 s[14:15], s[0:1], 0x28
	s_bfe_u32 s3, ttmp6, 0x4000c
	s_clause 0x1
	s_load_b128 s[8:11], s[0:1], 0x0
	s_load_b64 s[4:5], s[0:1], 0x10
	s_add_co_i32 s3, s3, 1
	s_and_b32 s6, ttmp6, 15
	s_mul_i32 s3, ttmp9, s3
	s_getreg_b32 s7, hwreg(HW_REG_IB_STS2, 6, 4)
	s_add_co_i32 s6, s6, s3
	v_dual_mov_b32 v3, 0 :: v_dual_lshlrev_b32 v2, 2, v0
	s_mov_b32 s13, 0
	s_wait_kmcnt 0x0
	s_and_b32 s2, s2, 0xffff
	s_cmp_eq_u32 s7, 0
	v_add_nc_u64_e32 v[8:9], s[4:5], v[2:3]
	s_cselect_b32 s3, ttmp9, s6
	s_lshl_b32 s12, s2, 2
	s_mul_i32 s3, s15, s3
	s_delay_alu instid0(SALU_CYCLE_1) | instskip(NEXT) | instid1(SALU_CYCLE_1)
	s_lshr_b32 s6, s3, 31
	s_add_co_i32 s3, s3, s6
	s_delay_alu instid0(VALU_DEP_1) | instskip(SKIP_1) | instid1(SALU_CYCLE_1)
	v_add_nc_u64_e32 v[10:11], s[12:13], v[8:9]
	s_ashr_i32 s3, s3, 1
	v_add_nc_u32_e32 v4, s3, v0
	s_delay_alu instid0(VALU_DEP_2) | instskip(NEXT) | instid1(VALU_DEP_2)
	v_add_nc_u64_e32 v[12:13], s[12:13], v[10:11]
	v_add_nc_u32_e32 v6, s2, v4
	s_delay_alu instid0(VALU_DEP_1)
	v_add_nc_u32_e32 v8, s2, v6
	s_clause 0x1
	global_load_b32 v1, v4, s[8:9] scale_offset
	global_load_b32 v5, v4, s[10:11] scale_offset
	;; [unrolled: 1-line block ×3, first 2 shown]
	s_clause 0x1
	global_load_b32 v9, v6, s[8:9] scale_offset
	global_load_b32 v14, v6, s[10:11] scale_offset
	global_load_b32 v15, v[10:11], off
	s_clause 0x1
	global_load_b32 v16, v8, s[8:9] scale_offset
	global_load_b32 v17, v8, s[10:11] scale_offset
	global_load_b32 v18, v[12:13], off
	s_wait_xcnt 0x0
	v_add_nc_u64_e32 v[12:13], s[12:13], v[12:13]
	s_wait_loadcnt 0x7
	v_pk_add_bf16 v1, v1, v5
	s_wait_loadcnt 0x6
	s_delay_alu instid0(VALU_DEP_1)
	v_pk_add_bf16 v11, v1, v7
	s_wait_loadcnt 0x4
	v_pk_add_bf16 v1, v9, v14
	v_mbcnt_lo_u32_b32 v14, -1, 0
	v_add_nc_u32_e32 v10, s2, v8
	s_clause 0x1
	global_load_b32 v19, v10, s[8:9] scale_offset
	global_load_b32 v20, v10, s[10:11] scale_offset
	global_load_b32 v21, v[12:13], off
	v_pk_add_bf16 v5, v11, 0
	s_wait_loadcnt 0x6
	v_pk_add_bf16 v9, v1, v15
	s_wait_loadcnt 0x4
	v_pk_add_bf16 v1, v16, v17
	s_wait_xcnt 0x0
	v_xor_b32_e32 v13, 16, v14
	v_pk_add_bf16 v5, v5, v9
	s_wait_loadcnt 0x3
	v_pk_add_bf16 v7, v1, v18
	s_delay_alu instid0(VALU_DEP_3) | instskip(SKIP_1) | instid1(VALU_DEP_3)
	v_cmp_gt_i32_e32 vcc_lo, 32, v13
	v_xor_b32_e32 v18, 1, v14
	v_pk_add_bf16 v12, v5, v7
	s_wait_loadcnt 0x1
	v_pk_add_bf16 v1, v19, v20
	s_wait_loadcnt 0x0
	s_delay_alu instid0(VALU_DEP_1) | instskip(SKIP_1) | instid1(VALU_DEP_2)
	v_pk_add_bf16 v5, v1, v21
	v_lshrrev_b32_e32 v21, 3, v0
	v_pk_add_bf16 v1, v12, v5
	s_delay_alu instid0(VALU_DEP_1) | instskip(SKIP_1) | instid1(VALU_DEP_1)
	v_and_b32_e32 v12, 0xffff0000, v1
	v_lshlrev_b32_e32 v1, 16, v1
	v_dual_add_f32 v1, v1, v12 :: v_dual_cndmask_b32 v12, v14, v13
	s_delay_alu instid0(VALU_DEP_1) | instskip(NEXT) | instid1(VALU_DEP_1)
	v_cvt_pk_bf16_f32 v13, v1, s0
	v_dual_lshlrev_b32 v1, 2, v12 :: v_dual_lshlrev_b32 v13, 16, v13
	ds_bpermute_b32 v15, v1, v13
	s_wait_dscnt 0x0
	v_dual_add_f32 v15, v13, v15 :: v_dual_bitop2_b32 v12, 8, v14 bitop3:0x14
	s_delay_alu instid0(VALU_DEP_1) | instskip(SKIP_1) | instid1(VALU_DEP_1)
	v_cmp_gt_i32_e32 vcc_lo, 32, v12
	v_dual_cndmask_b32 v12, v14, v12, vcc_lo :: v_dual_bitop2_b32 v13, 4, v14 bitop3:0x14
	v_cmp_gt_i32_e32 vcc_lo, 32, v13
	s_delay_alu instid0(VALU_DEP_2)
	v_dual_cndmask_b32 v13, v14, v13 :: v_dual_lshlrev_b32 v12, 2, v12
	ds_bpermute_b32 v16, v12, v15
	s_wait_dscnt 0x0
	v_dual_add_f32 v16, v15, v16 :: v_dual_lshlrev_b32 v13, 2, v13
	ds_bpermute_b32 v17, v13, v16
	s_wait_dscnt 0x0
	v_dual_add_f32 v16, v16, v17 :: v_dual_bitop2_b32 v15, 2, v14 bitop3:0x14
	s_delay_alu instid0(VALU_DEP_1) | instskip(SKIP_2) | instid1(VALU_DEP_2)
	v_cmp_gt_i32_e32 vcc_lo, 32, v15
	v_cndmask_b32_e32 v15, v14, v15, vcc_lo
	v_cmp_gt_i32_e32 vcc_lo, 32, v18
	v_dual_cndmask_b32 v14, v14, v18 :: v_dual_lshlrev_b32 v15, 2, v15
	ds_bpermute_b32 v17, v15, v16
	v_dual_lshlrev_b32 v18, 2, v14 :: v_dual_bitop2_b32 v14, 31, v0 bitop3:0x40
	s_delay_alu instid0(VALU_DEP_1)
	v_cmp_eq_u32_e64 s4, 0, v14
	s_wait_dscnt 0x0
	v_add_f32_e32 v16, v16, v17
	ds_bpermute_b32 v17, v18, v16
	s_and_saveexec_b32 s3, s4
	s_cbranch_execz .LBB17_2
; %bb.1:
	s_wait_dscnt 0x0
	v_add_f32_e32 v16, v16, v17
	ds_store_b32 v21, v16
.LBB17_2:
	s_or_b32 exec_lo, exec_lo, s3
	s_lshr_b32 s2, s2, 5
	v_lshlrev_b32_e32 v20, 2, v14
	v_cmp_gt_u32_e64 s3, s2, v0
	s_wait_dscnt 0x0
	s_barrier_signal -1
	s_barrier_wait -1
	s_and_saveexec_b32 s2, s3
; %bb.3:
	ds_load_b32 v3, v20
; %bb.4:
	s_or_b32 exec_lo, exec_lo, s2
	s_wait_dscnt 0x0
	ds_bpermute_b32 v14, v1, v3
	v_cmp_eq_u32_e64 s2, 0, v0
	s_cvt_f32_i32 s10, s15
	s_wait_dscnt 0x0
	v_add_f32_e32 v3, v3, v14
	ds_bpermute_b32 v14, v12, v3
	s_wait_dscnt 0x0
	v_add_f32_e32 v3, v3, v14
	ds_bpermute_b32 v14, v13, v3
	;; [unrolled: 3-line block ×4, first 2 shown]
	s_and_saveexec_b32 s5, s2
	s_cbranch_execz .LBB17_6
; %bb.5:
	s_wait_dscnt 0x0
	v_add_f32_e32 v3, v3, v14
	s_delay_alu instid0(VALU_DEP_1) | instskip(NEXT) | instid1(VALU_DEP_1)
	v_div_scale_f32 v14, null, s10, s10, v3
	v_rcp_f32_e32 v16, v14
	v_nop
	s_delay_alu instid0(TRANS32_DEP_1) | instskip(NEXT) | instid1(VALU_DEP_1)
	v_fma_f32 v17, -v14, v16, 1.0
	v_fmac_f32_e32 v16, v17, v16
	v_div_scale_f32 v19, vcc_lo, v3, s10, v3
	s_delay_alu instid0(VALU_DEP_1) | instskip(NEXT) | instid1(VALU_DEP_1)
	v_mul_f32_e32 v17, v19, v16
	v_fma_f32 v22, -v14, v17, v19
	s_delay_alu instid0(VALU_DEP_1) | instskip(NEXT) | instid1(VALU_DEP_1)
	v_fmac_f32_e32 v17, v22, v16
	v_fma_f32 v14, -v14, v17, v19
	s_delay_alu instid0(VALU_DEP_1) | instskip(NEXT) | instid1(VALU_DEP_1)
	v_div_fmas_f32 v14, v14, v16, v17
	v_div_fixup_f32 v3, v14, s10, v3
	v_mov_b32_e32 v14, 0
	ds_store_b32 v14, v3 offset:132
.LBB17_6:
	s_or_b32 exec_lo, exec_lo, s5
	v_mov_b32_e32 v3, 0
	s_wait_dscnt 0x0
	s_barrier_signal -1
	s_barrier_wait -1
	ds_load_b32 v14, v3 offset:132
	s_wait_dscnt 0x0
	v_cvt_pk_bf16_f32 v19, v14, s0
	s_delay_alu instid0(VALU_DEP_1) | instskip(SKIP_3) | instid1(VALU_DEP_4)
	v_pk_add_bf16 v14, v11, v19 op_sel_hi:[1,0] neg_lo:[0,1] neg_hi:[0,1]
	v_pk_add_bf16 v16, v9, v19 op_sel_hi:[1,0] neg_lo:[0,1] neg_hi:[0,1]
	;; [unrolled: 1-line block ×4, first 2 shown]
	v_and_b32_e32 v7, 0xffff0000, v14
	s_delay_alu instid0(VALU_DEP_4) | instskip(NEXT) | instid1(VALU_DEP_4)
	v_and_b32_e32 v9, 0xffff0000, v16
	v_and_b32_e32 v11, 0xffff0000, v17
	s_delay_alu instid0(VALU_DEP_2) | instskip(NEXT) | instid1(VALU_DEP_2)
	v_dual_mul_f32 v7, v7, v7 :: v_dual_mul_f32 v9, v9, v9
	v_mul_f32_e32 v5, v11, v11
	v_and_b32_e32 v11, 0xffff0000, v19
	s_delay_alu instid0(VALU_DEP_3) | instskip(NEXT) | instid1(VALU_DEP_4)
	v_fma_mix_f32_bf16 v7, v14, v14, v7 op_sel_hi:[1,1,0]
	v_fma_mix_f32_bf16 v9, v16, v16, v9 op_sel_hi:[1,1,0]
	s_delay_alu instid0(VALU_DEP_4) | instskip(NEXT) | instid1(VALU_DEP_2)
	v_fma_mix_f32_bf16 v5, v17, v17, v5 op_sel_hi:[1,1,0]
	v_add_f32_e32 v7, v7, v9
	v_dual_mul_f32 v9, v11, v11 :: v_dual_ashrrev_i32 v11, 31, v10
	s_delay_alu instid0(VALU_DEP_2) | instskip(NEXT) | instid1(VALU_DEP_2)
	v_add_f32_e32 v5, v7, v5
	v_fma_mix_f32_bf16 v7, v19, v19, v9 op_sel_hi:[1,1,0]
	s_delay_alu instid0(VALU_DEP_1)
	v_dual_ashrrev_i32 v9, 31, v8 :: v_dual_add_f32 v5, v5, v7
	ds_bpermute_b32 v7, v1, v5
	s_wait_dscnt 0x0
	v_add_f32_e32 v5, v5, v7
	ds_bpermute_b32 v7, v12, v5
	s_wait_dscnt 0x0
	v_add_f32_e32 v5, v5, v7
	ds_bpermute_b32 v7, v13, v5
	s_wait_dscnt 0x0
	v_add_f32_e32 v5, v5, v7
	ds_bpermute_b32 v7, v15, v5
	s_wait_dscnt 0x0
	v_dual_add_f32 v22, v5, v7 :: v_dual_ashrrev_i32 v5, 31, v4
	v_ashrrev_i32_e32 v7, 31, v6
	ds_bpermute_b32 v23, v18, v22
	s_and_saveexec_b32 s5, s4
	s_cbranch_execz .LBB17_8
; %bb.7:
	s_wait_dscnt 0x0
	v_add_f32_e32 v22, v22, v23
	ds_store_b32 v21, v22
.LBB17_8:
	s_or_b32 exec_lo, exec_lo, s5
	s_load_b128 s[4:7], s[0:1], 0x18
	s_wait_dscnt 0x0
	s_barrier_signal -1
	s_barrier_wait -1
	s_wait_xcnt 0x0
	s_and_saveexec_b32 s0, s3
; %bb.9:
	ds_load_b32 v3, v20
; %bb.10:
	s_or_b32 exec_lo, exec_lo, s0
	s_wait_dscnt 0x0
	ds_bpermute_b32 v1, v1, v3
	v_lshl_add_u64 v[4:5], v[4:5], 2, s[8:9]
	v_lshl_add_u64 v[6:7], v[6:7], 2, s[8:9]
	v_lshl_add_u64 v[8:9], v[8:9], 2, s[8:9]
	v_lshl_add_u64 v[10:11], v[10:11], 2, s[8:9]
	s_wait_dscnt 0x0
	v_add_f32_e32 v1, v3, v1
	ds_bpermute_b32 v3, v12, v1
	s_wait_dscnt 0x0
	v_add_f32_e32 v1, v1, v3
	ds_bpermute_b32 v3, v13, v1
	;; [unrolled: 3-line block ×4, first 2 shown]
	s_and_saveexec_b32 s0, s2
	s_cbranch_execz .LBB17_12
; %bb.11:
	s_wait_dscnt 0x0
	v_add_f32_e32 v1, v1, v3
	s_delay_alu instid0(VALU_DEP_1) | instskip(SKIP_1) | instid1(VALU_DEP_2)
	v_div_scale_f32 v3, null, s10, s10, v1
	v_div_scale_f32 v15, vcc_lo, v1, s10, v1
	v_rcp_f32_e32 v12, v3
	v_nop
	s_delay_alu instid0(TRANS32_DEP_1) | instskip(NEXT) | instid1(VALU_DEP_1)
	v_fma_f32 v13, -v3, v12, 1.0
	v_fmac_f32_e32 v12, v13, v12
	s_delay_alu instid0(VALU_DEP_1) | instskip(NEXT) | instid1(VALU_DEP_1)
	v_mul_f32_e32 v13, v15, v12
	v_fma_f32 v18, -v3, v13, v15
	s_delay_alu instid0(VALU_DEP_1) | instskip(NEXT) | instid1(VALU_DEP_1)
	v_fmac_f32_e32 v13, v18, v12
	v_fma_f32 v3, -v3, v13, v15
	s_delay_alu instid0(VALU_DEP_1) | instskip(NEXT) | instid1(VALU_DEP_1)
	v_div_fmas_f32 v3, v3, v12, v13
	v_div_fixup_f32 v1, v3, s10, v1
	s_delay_alu instid0(VALU_DEP_1) | instskip(NEXT) | instid1(VALU_DEP_1)
	v_add_f32_e32 v1, s14, v1
	v_mul_f32_e32 v3, 0x4b800000, v1
	v_cmp_gt_f32_e32 vcc_lo, 0x800000, v1
	s_delay_alu instid0(VALU_DEP_2) | instskip(NEXT) | instid1(VALU_DEP_1)
	v_cndmask_b32_e32 v1, v1, v3, vcc_lo
	v_rsq_f32_e32 v1, v1
	v_nop
	s_delay_alu instid0(TRANS32_DEP_1) | instskip(NEXT) | instid1(VALU_DEP_1)
	v_mul_f32_e32 v3, 0x45800000, v1
	v_dual_cndmask_b32 v1, v1, v3, vcc_lo :: v_dual_mov_b32 v3, 0
	ds_store_b32 v3, v1 offset:128
.LBB17_12:
	s_or_b32 exec_lo, exec_lo, s0
	s_wait_dscnt 0x0
	v_mov_b32_e32 v3, 0
	s_barrier_signal -1
	s_barrier_wait -1
	s_wait_kmcnt 0x0
	s_delay_alu instid0(VALU_DEP_1) | instskip(SKIP_1) | instid1(VALU_DEP_2)
	v_add_nc_u64_e32 v[12:13], s[4:5], v[2:3]
	v_add_nc_u64_e32 v[20:21], s[6:7], v[2:3]
	;; [unrolled: 1-line block ×3, first 2 shown]
	s_delay_alu instid0(VALU_DEP_2) | instskip(NEXT) | instid1(VALU_DEP_2)
	v_add_nc_u64_e32 v[20:21], s[12:13], v[20:21]
	v_add_nc_u64_e32 v[22:23], s[12:13], v[12:13]
	s_delay_alu instid0(VALU_DEP_2) | instskip(NEXT) | instid1(VALU_DEP_2)
	v_add_nc_u64_e32 v[24:25], s[12:13], v[20:21]
	v_add_nc_u64_e32 v[26:27], s[12:13], v[22:23]
	s_delay_alu instid0(VALU_DEP_2)
	v_add_nc_u64_e32 v[28:29], s[12:13], v[24:25]
	s_clause 0x1
	global_load_b32 v1, v0, s[4:5] scale_offset
	global_load_b32 v2, v0, s[6:7] scale_offset
	global_load_b32 v15, v[12:13], off
	global_load_b32 v18, v[20:21], off
	;; [unrolled: 1-line block ×6, first 2 shown]
	s_wait_xcnt 0x6
	ds_load_b32 v0, v3 offset:128
	s_wait_dscnt 0x0
	v_cvt_pk_bf16_f32 v0, v0, s0
	s_delay_alu instid0(VALU_DEP_1)
	v_pk_mul_bf16 v3, v0, v14 op_sel_hi:[0,1]
	s_wait_xcnt 0x5
	v_pk_mul_bf16 v12, v0, v16 op_sel_hi:[0,1]
	v_pk_mul_bf16 v13, v0, v17 op_sel_hi:[0,1]
	;; [unrolled: 1-line block ×3, first 2 shown]
	s_wait_loadcnt 0x6
	v_pk_fma_bf16 v1, v3, v1, v2
	s_wait_loadcnt 0x4
	v_pk_fma_bf16 v2, v12, v15, v18
	;; [unrolled: 2-line block ×4, first 2 shown]
	s_clause 0x3
	global_store_b32 v[4:5], v1, off
	global_store_b32 v[6:7], v2, off
	global_store_b32 v[8:9], v3, off
	global_store_b32 v[10:11], v0, off
	s_endpgm
	.section	.rodata,"a",@progbits
	.p2align	6, 0x0
	.amdhsa_kernel _Z30addBiasResidualPostLayerNormV2I14__hip_bfloat16Li32EEvPT_PKS1_S4_S4_S4_fi
		.amdhsa_group_segment_fixed_size 136
		.amdhsa_private_segment_fixed_size 0
		.amdhsa_kernarg_size 304
		.amdhsa_user_sgpr_count 2
		.amdhsa_user_sgpr_dispatch_ptr 0
		.amdhsa_user_sgpr_queue_ptr 0
		.amdhsa_user_sgpr_kernarg_segment_ptr 1
		.amdhsa_user_sgpr_dispatch_id 0
		.amdhsa_user_sgpr_kernarg_preload_length 0
		.amdhsa_user_sgpr_kernarg_preload_offset 0
		.amdhsa_user_sgpr_private_segment_size 0
		.amdhsa_wavefront_size32 1
		.amdhsa_uses_dynamic_stack 0
		.amdhsa_enable_private_segment 0
		.amdhsa_system_sgpr_workgroup_id_x 1
		.amdhsa_system_sgpr_workgroup_id_y 0
		.amdhsa_system_sgpr_workgroup_id_z 0
		.amdhsa_system_sgpr_workgroup_info 0
		.amdhsa_system_vgpr_workitem_id 0
		.amdhsa_next_free_vgpr 34
		.amdhsa_next_free_sgpr 16
		.amdhsa_named_barrier_count 0
		.amdhsa_reserve_vcc 1
		.amdhsa_float_round_mode_32 0
		.amdhsa_float_round_mode_16_64 0
		.amdhsa_float_denorm_mode_32 3
		.amdhsa_float_denorm_mode_16_64 3
		.amdhsa_fp16_overflow 0
		.amdhsa_memory_ordered 1
		.amdhsa_forward_progress 1
		.amdhsa_inst_pref_size 16
		.amdhsa_round_robin_scheduling 0
		.amdhsa_exception_fp_ieee_invalid_op 0
		.amdhsa_exception_fp_denorm_src 0
		.amdhsa_exception_fp_ieee_div_zero 0
		.amdhsa_exception_fp_ieee_overflow 0
		.amdhsa_exception_fp_ieee_underflow 0
		.amdhsa_exception_fp_ieee_inexact 0
		.amdhsa_exception_int_div_zero 0
	.end_amdhsa_kernel
	.section	.text._Z30addBiasResidualPostLayerNormV2I14__hip_bfloat16Li32EEvPT_PKS1_S4_S4_S4_fi,"axG",@progbits,_Z30addBiasResidualPostLayerNormV2I14__hip_bfloat16Li32EEvPT_PKS1_S4_S4_S4_fi,comdat
.Lfunc_end17:
	.size	_Z30addBiasResidualPostLayerNormV2I14__hip_bfloat16Li32EEvPT_PKS1_S4_S4_S4_fi, .Lfunc_end17-_Z30addBiasResidualPostLayerNormV2I14__hip_bfloat16Li32EEvPT_PKS1_S4_S4_S4_fi
                                        ; -- End function
	.set _Z30addBiasResidualPostLayerNormV2I14__hip_bfloat16Li32EEvPT_PKS1_S4_S4_S4_fi.num_vgpr, 34
	.set _Z30addBiasResidualPostLayerNormV2I14__hip_bfloat16Li32EEvPT_PKS1_S4_S4_S4_fi.num_agpr, 0
	.set _Z30addBiasResidualPostLayerNormV2I14__hip_bfloat16Li32EEvPT_PKS1_S4_S4_S4_fi.numbered_sgpr, 16
	.set _Z30addBiasResidualPostLayerNormV2I14__hip_bfloat16Li32EEvPT_PKS1_S4_S4_S4_fi.num_named_barrier, 0
	.set _Z30addBiasResidualPostLayerNormV2I14__hip_bfloat16Li32EEvPT_PKS1_S4_S4_S4_fi.private_seg_size, 0
	.set _Z30addBiasResidualPostLayerNormV2I14__hip_bfloat16Li32EEvPT_PKS1_S4_S4_S4_fi.uses_vcc, 1
	.set _Z30addBiasResidualPostLayerNormV2I14__hip_bfloat16Li32EEvPT_PKS1_S4_S4_S4_fi.uses_flat_scratch, 0
	.set _Z30addBiasResidualPostLayerNormV2I14__hip_bfloat16Li32EEvPT_PKS1_S4_S4_S4_fi.has_dyn_sized_stack, 0
	.set _Z30addBiasResidualPostLayerNormV2I14__hip_bfloat16Li32EEvPT_PKS1_S4_S4_S4_fi.has_recursion, 0
	.set _Z30addBiasResidualPostLayerNormV2I14__hip_bfloat16Li32EEvPT_PKS1_S4_S4_S4_fi.has_indirect_call, 0
	.section	.AMDGPU.csdata,"",@progbits
; Kernel info:
; codeLenInByte = 2000
; TotalNumSgprs: 18
; NumVgprs: 34
; ScratchSize: 0
; MemoryBound: 0
; FloatMode: 240
; IeeeMode: 1
; LDSByteSize: 136 bytes/workgroup (compile time only)
; SGPRBlocks: 0
; VGPRBlocks: 2
; NumSGPRsForWavesPerEU: 18
; NumVGPRsForWavesPerEU: 34
; NamedBarCnt: 0
; Occupancy: 16
; WaveLimiterHint : 0
; COMPUTE_PGM_RSRC2:SCRATCH_EN: 0
; COMPUTE_PGM_RSRC2:USER_SGPR: 2
; COMPUTE_PGM_RSRC2:TRAP_HANDLER: 0
; COMPUTE_PGM_RSRC2:TGID_X_EN: 1
; COMPUTE_PGM_RSRC2:TGID_Y_EN: 0
; COMPUTE_PGM_RSRC2:TGID_Z_EN: 0
; COMPUTE_PGM_RSRC2:TIDIG_COMP_CNT: 0
	.section	.text._Z28addBiasResidualPostLayerNormI14__hip_bfloat16Li1ELi64EEvPT_PKS1_S4_S4_S4_fi,"axG",@progbits,_Z28addBiasResidualPostLayerNormI14__hip_bfloat16Li1ELi64EEvPT_PKS1_S4_S4_S4_fi,comdat
	.protected	_Z28addBiasResidualPostLayerNormI14__hip_bfloat16Li1ELi64EEvPT_PKS1_S4_S4_S4_fi ; -- Begin function _Z28addBiasResidualPostLayerNormI14__hip_bfloat16Li1ELi64EEvPT_PKS1_S4_S4_S4_fi
	.globl	_Z28addBiasResidualPostLayerNormI14__hip_bfloat16Li1ELi64EEvPT_PKS1_S4_S4_S4_fi
	.p2align	8
	.type	_Z28addBiasResidualPostLayerNormI14__hip_bfloat16Li1ELi64EEvPT_PKS1_S4_S4_S4_fi,@function
_Z28addBiasResidualPostLayerNormI14__hip_bfloat16Li1ELi64EEvPT_PKS1_S4_S4_S4_fi: ; @_Z28addBiasResidualPostLayerNormI14__hip_bfloat16Li1ELi64EEvPT_PKS1_S4_S4_S4_fi
; %bb.0:
	s_clause 0x1
	s_load_b64 s[8:9], s[0:1], 0x28
	s_load_b64 s[6:7], s[0:1], 0x0
	v_mov_b32_e32 v4, 0
	s_getreg_b32 s10, hwreg(HW_REG_IB_STS2, 6, 4)
                                        ; implicit-def: $vgpr1
	s_wait_kmcnt 0x0
	v_cmp_gt_i32_e64 s2, s9, v0
	s_and_saveexec_b32 s3, s2
	s_cbranch_execz .LBB18_2
; %bb.1:
	s_bfe_u32 s4, ttmp6, 0x4000c
	s_load_b128 s[12:15], s[0:1], 0x8
	s_add_co_i32 s4, s4, 1
	s_and_b32 s5, ttmp6, 15
	s_mul_i32 s4, ttmp9, s4
	s_delay_alu instid0(SALU_CYCLE_1) | instskip(SKIP_2) | instid1(SALU_CYCLE_1)
	s_add_co_i32 s5, s5, s4
	s_cmp_eq_u32 s10, 0
	s_cselect_b32 s4, ttmp9, s5
	v_mad_u32 v1, s9, s4, v0
	s_wait_kmcnt 0x0
	s_clause 0x1
	global_load_u16 v2, v1, s[12:13] scale_offset
	global_load_u16 v3, v1, s[6:7] scale_offset
	global_load_u16 v4, v0, s[14:15] scale_offset
	s_wait_loadcnt 0x1
	s_wait_xcnt 0x1
	v_dual_lshlrev_b32 v1, 16, v2 :: v_dual_lshlrev_b32 v2, 16, v3
	s_wait_loadcnt 0x0
	s_delay_alu instid0(VALU_DEP_1) | instskip(NEXT) | instid1(VALU_DEP_1)
	v_dual_add_f32 v1, v2, v1 :: v_dual_lshlrev_b32 v2, 16, v4
	v_cvt_pk_bf16_f32 v1, v1, s0
	s_delay_alu instid0(VALU_DEP_1) | instskip(NEXT) | instid1(VALU_DEP_1)
	v_lshlrev_b32_e32 v1, 16, v1
	v_add_f32_e32 v1, v1, v2
	s_delay_alu instid0(VALU_DEP_1) | instskip(NEXT) | instid1(VALU_DEP_1)
	v_cvt_pk_bf16_f32 v1, v1, s0
	v_lshlrev_b32_e32 v1, 16, v1
	s_delay_alu instid0(VALU_DEP_1)
	v_add_f32_e32 v4, 0, v1
.LBB18_2:
	s_or_b32 exec_lo, exec_lo, s3
	v_mbcnt_lo_u32_b32 v7, -1, 0
	s_delay_alu instid0(VALU_DEP_1) | instskip(SKIP_2) | instid1(VALU_DEP_3)
	v_or_b32_e32 v2, 32, v7
	v_xor_b32_e32 v3, 16, v7
	v_xor_b32_e32 v10, 1, v7
	v_cmp_gt_i32_e32 vcc_lo, 64, v2
	v_cndmask_b32_e32 v2, v7, v2, vcc_lo
	s_delay_alu instid0(VALU_DEP_4) | instskip(NEXT) | instid1(VALU_DEP_2)
	v_cmp_gt_i32_e32 vcc_lo, 64, v3
	v_dual_cndmask_b32 v3, v7, v3 :: v_dual_lshlrev_b32 v2, 2, v2
	ds_bpermute_b32 v5, v2, v4
	s_wait_dscnt 0x0
	v_dual_add_f32 v5, v4, v5 :: v_dual_bitop2_b32 v4, 8, v7 bitop3:0x14
	s_delay_alu instid0(VALU_DEP_1)
	v_cmp_gt_i32_e32 vcc_lo, 64, v4
	v_dual_cndmask_b32 v4, v7, v4 :: v_dual_lshlrev_b32 v3, 2, v3
	ds_bpermute_b32 v6, v3, v5
	s_wait_dscnt 0x0
	v_dual_lshlrev_b32 v4, 2, v4 :: v_dual_add_f32 v6, v5, v6
	v_xor_b32_e32 v5, 4, v7
	ds_bpermute_b32 v8, v4, v6
	v_cmp_gt_i32_e32 vcc_lo, 64, v5
	s_wait_dscnt 0x0
	v_dual_cndmask_b32 v5, v7, v5 :: v_dual_add_f32 v8, v6, v8
	s_delay_alu instid0(VALU_DEP_1)
	v_dual_lshlrev_b32 v5, 2, v5 :: v_dual_bitop2_b32 v6, 2, v7 bitop3:0x14
	ds_bpermute_b32 v9, v5, v8
	v_cmp_gt_i32_e32 vcc_lo, 64, v6
	v_cndmask_b32_e32 v6, v7, v6, vcc_lo
	v_cmp_gt_i32_e32 vcc_lo, 64, v10
	s_wait_dscnt 0x0
	s_delay_alu instid0(VALU_DEP_2) | instskip(SKIP_3) | instid1(VALU_DEP_1)
	v_dual_add_f32 v8, v8, v9 :: v_dual_lshlrev_b32 v6, 2, v6
	ds_bpermute_b32 v9, v6, v8
	s_wait_dscnt 0x0
	v_dual_cndmask_b32 v7, v7, v10 :: v_dual_add_f32 v10, v8, v9
	v_dual_lshlrev_b32 v7, 2, v7 :: v_dual_bitop2_b32 v9, 63, v0 bitop3:0x40
	v_lshrrev_b32_e32 v8, 4, v0
	ds_bpermute_b32 v11, v7, v10
	v_cmp_eq_u32_e64 s3, 0, v9
	s_and_saveexec_b32 s4, s3
	s_cbranch_execz .LBB18_4
; %bb.3:
	s_wait_dscnt 0x0
	v_add_f32_e32 v10, v10, v11
	ds_store_b32 v8, v10
.LBB18_4:
	s_or_b32 exec_lo, exec_lo, s4
	s_wait_dscnt 0x0
	s_barrier_signal -1
	s_barrier_wait -1
	s_load_b32 s4, s[0:1], 0x3c
	v_dual_mov_b32 v10, 0 :: v_dual_lshlrev_b32 v9, 2, v9
	s_wait_kmcnt 0x0
	s_bfe_u32 s4, s4, 0xa0006
	s_delay_alu instid0(SALU_CYCLE_1)
	v_cmp_gt_u32_e64 s4, s4, v0
	s_and_saveexec_b32 s5, s4
; %bb.5:
	ds_load_b32 v10, v9
; %bb.6:
	s_or_b32 exec_lo, exec_lo, s5
	s_wait_dscnt 0x0
	ds_bpermute_b32 v11, v2, v10
	v_cmp_eq_u32_e64 s5, 0, v0
	s_cvt_f32_i32 s11, s9
	s_wait_dscnt 0x0
	v_add_f32_e32 v10, v10, v11
	ds_bpermute_b32 v11, v3, v10
	s_wait_dscnt 0x0
	v_add_f32_e32 v10, v10, v11
	ds_bpermute_b32 v11, v4, v10
	;; [unrolled: 3-line block ×5, first 2 shown]
	s_and_saveexec_b32 s12, s5
	s_cbranch_execz .LBB18_8
; %bb.7:
	s_wait_dscnt 0x0
	v_add_f32_e32 v10, v10, v11
	s_delay_alu instid0(VALU_DEP_1) | instskip(NEXT) | instid1(VALU_DEP_1)
	v_div_scale_f32 v11, null, s11, s11, v10
	v_rcp_f32_e32 v12, v11
	v_nop
	s_delay_alu instid0(TRANS32_DEP_1) | instskip(NEXT) | instid1(VALU_DEP_1)
	v_fma_f32 v13, -v11, v12, 1.0
	v_fmac_f32_e32 v12, v13, v12
	v_div_scale_f32 v14, vcc_lo, v10, s11, v10
	s_delay_alu instid0(VALU_DEP_1) | instskip(NEXT) | instid1(VALU_DEP_1)
	v_mul_f32_e32 v13, v14, v12
	v_fma_f32 v15, -v11, v13, v14
	s_delay_alu instid0(VALU_DEP_1) | instskip(NEXT) | instid1(VALU_DEP_1)
	v_fmac_f32_e32 v13, v15, v12
	v_fma_f32 v11, -v11, v13, v14
	s_delay_alu instid0(VALU_DEP_1) | instskip(NEXT) | instid1(VALU_DEP_1)
	v_div_fmas_f32 v11, v11, v12, v13
	v_div_fixup_f32 v10, v11, s11, v10
	v_mov_b32_e32 v11, 0
	ds_store_b32 v11, v10 offset:68
.LBB18_8:
	s_or_b32 exec_lo, exec_lo, s12
	v_mov_b32_e32 v10, 0
	s_wait_dscnt 0x0
	s_barrier_signal -1
	s_barrier_wait -1
	ds_load_b32 v11, v10 offset:68
	s_wait_dscnt 0x0
	v_sub_f32_e32 v11, v1, v11
	s_delay_alu instid0(VALU_DEP_1) | instskip(NEXT) | instid1(VALU_DEP_1)
	v_mul_f32_e32 v11, v11, v11
	v_cndmask_b32_e64 v11, 0, v11, s2
	ds_bpermute_b32 v12, v2, v11
	s_wait_dscnt 0x0
	v_add_f32_e32 v11, v11, v12
	ds_bpermute_b32 v12, v3, v11
	s_wait_dscnt 0x0
	v_add_f32_e32 v11, v11, v12
	ds_bpermute_b32 v12, v4, v11
	s_wait_dscnt 0x0
	v_add_f32_e32 v11, v11, v12
	ds_bpermute_b32 v12, v5, v11
	s_wait_dscnt 0x0
	v_add_f32_e32 v11, v11, v12
	ds_bpermute_b32 v12, v6, v11
	s_wait_dscnt 0x0
	v_add_f32_e32 v11, v11, v12
	ds_bpermute_b32 v12, v7, v11
	s_and_saveexec_b32 s12, s3
	s_cbranch_execz .LBB18_10
; %bb.9:
	s_wait_dscnt 0x0
	v_add_f32_e32 v11, v11, v12
	ds_store_b32 v8, v11
.LBB18_10:
	s_or_b32 exec_lo, exec_lo, s12
	s_wait_dscnt 0x0
	s_barrier_signal -1
	s_barrier_wait -1
	s_and_saveexec_b32 s3, s4
; %bb.11:
	ds_load_b32 v10, v9
; %bb.12:
	s_or_b32 exec_lo, exec_lo, s3
	s_wait_dscnt 0x0
	ds_bpermute_b32 v2, v2, v10
	s_wait_dscnt 0x0
	v_add_f32_e32 v2, v10, v2
	ds_bpermute_b32 v3, v3, v2
	s_wait_dscnt 0x0
	v_add_f32_e32 v2, v2, v3
	;; [unrolled: 3-line block ×5, first 2 shown]
	ds_bpermute_b32 v3, v7, v2
	s_and_saveexec_b32 s3, s5
	s_cbranch_execz .LBB18_14
; %bb.13:
	s_wait_dscnt 0x0
	v_add_f32_e32 v2, v2, v3
	s_delay_alu instid0(VALU_DEP_1) | instskip(NEXT) | instid1(VALU_DEP_1)
	v_div_scale_f32 v3, null, s11, s11, v2
	v_rcp_f32_e32 v4, v3
	v_nop
	s_delay_alu instid0(TRANS32_DEP_1) | instskip(NEXT) | instid1(VALU_DEP_1)
	v_fma_f32 v5, -v3, v4, 1.0
	v_fmac_f32_e32 v4, v5, v4
	v_div_scale_f32 v6, vcc_lo, v2, s11, v2
	s_delay_alu instid0(VALU_DEP_1) | instskip(NEXT) | instid1(VALU_DEP_1)
	v_mul_f32_e32 v5, v6, v4
	v_fma_f32 v7, -v3, v5, v6
	s_delay_alu instid0(VALU_DEP_1) | instskip(NEXT) | instid1(VALU_DEP_1)
	v_fmac_f32_e32 v5, v7, v4
	v_fma_f32 v3, -v3, v5, v6
	s_delay_alu instid0(VALU_DEP_1) | instskip(NEXT) | instid1(VALU_DEP_1)
	v_div_fmas_f32 v3, v3, v4, v5
	v_div_fixup_f32 v2, v3, s11, v2
	s_delay_alu instid0(VALU_DEP_1)
	v_dual_mov_b32 v3, 0 :: v_dual_add_f32 v2, s8, v2
	ds_store_b32 v3, v2 offset:64
.LBB18_14:
	s_or_b32 exec_lo, exec_lo, s3
	s_wait_dscnt 0x0
	s_barrier_signal -1
	s_barrier_wait -1
	s_and_saveexec_b32 s3, s2
	s_cbranch_execz .LBB18_16
; %bb.15:
	s_load_b128 s[12:15], s[0:1], 0x18
	v_mov_b32_e32 v2, 0
	s_wait_kmcnt 0x0
	s_clause 0x1
	global_load_u16 v4, v0, s[12:13] scale_offset
	global_load_u16 v5, v0, s[14:15] scale_offset
	ds_load_b64 v[2:3], v2 offset:64
	s_wait_dscnt 0x0
	v_readfirstlane_b32 s0, v2
	v_sub_f32_e32 v1, v1, v3
	s_cmp_lt_f32 s0, 0x800000
	s_mul_f32 s1, s0, 0x4b800000
	s_delay_alu instid0(SALU_CYCLE_3) | instskip(NEXT) | instid1(SALU_CYCLE_1)
	s_cselect_b32 s0, s1, s0
	v_s_rsq_f32 s0, s0
	s_delay_alu instid0(TRANS32_DEP_1) | instskip(NEXT) | instid1(SALU_CYCLE_3)
	s_mul_f32 s1, s0, 0x45800000
	s_cselect_b32 s0, s1, s0
	s_bfe_u32 s1, ttmp6, 0x4000c
	s_and_b32 s2, ttmp6, 15
	s_add_co_i32 s1, s1, 1
	v_nop
	v_mul_f32_e32 v1, s0, v1
	s_mul_i32 s1, ttmp9, s1
	s_delay_alu instid0(SALU_CYCLE_1)
	s_add_co_i32 s2, s2, s1
	s_cmp_eq_u32 s10, 0
	s_cselect_b32 s1, ttmp9, s2
	s_wait_xcnt 0x0
	v_mad_u32 v0, s9, s1, v0
	s_wait_loadcnt 0x0
	v_fma_mixlo_bf16 v1, v1, v4, v5 op_sel_hi:[0,1,1]
	global_store_b16 v0, v1, s[6:7] scale_offset
.LBB18_16:
	s_endpgm
	.section	.rodata,"a",@progbits
	.p2align	6, 0x0
	.amdhsa_kernel _Z28addBiasResidualPostLayerNormI14__hip_bfloat16Li1ELi64EEvPT_PKS1_S4_S4_S4_fi
		.amdhsa_group_segment_fixed_size 72
		.amdhsa_private_segment_fixed_size 0
		.amdhsa_kernarg_size 304
		.amdhsa_user_sgpr_count 2
		.amdhsa_user_sgpr_dispatch_ptr 0
		.amdhsa_user_sgpr_queue_ptr 0
		.amdhsa_user_sgpr_kernarg_segment_ptr 1
		.amdhsa_user_sgpr_dispatch_id 0
		.amdhsa_user_sgpr_kernarg_preload_length 0
		.amdhsa_user_sgpr_kernarg_preload_offset 0
		.amdhsa_user_sgpr_private_segment_size 0
		.amdhsa_wavefront_size32 1
		.amdhsa_uses_dynamic_stack 0
		.amdhsa_enable_private_segment 0
		.amdhsa_system_sgpr_workgroup_id_x 1
		.amdhsa_system_sgpr_workgroup_id_y 0
		.amdhsa_system_sgpr_workgroup_id_z 0
		.amdhsa_system_sgpr_workgroup_info 0
		.amdhsa_system_vgpr_workitem_id 0
		.amdhsa_next_free_vgpr 16
		.amdhsa_next_free_sgpr 16
		.amdhsa_named_barrier_count 0
		.amdhsa_reserve_vcc 1
		.amdhsa_float_round_mode_32 0
		.amdhsa_float_round_mode_16_64 0
		.amdhsa_float_denorm_mode_32 3
		.amdhsa_float_denorm_mode_16_64 3
		.amdhsa_fp16_overflow 0
		.amdhsa_memory_ordered 1
		.amdhsa_forward_progress 1
		.amdhsa_inst_pref_size 12
		.amdhsa_round_robin_scheduling 0
		.amdhsa_exception_fp_ieee_invalid_op 0
		.amdhsa_exception_fp_denorm_src 0
		.amdhsa_exception_fp_ieee_div_zero 0
		.amdhsa_exception_fp_ieee_overflow 0
		.amdhsa_exception_fp_ieee_underflow 0
		.amdhsa_exception_fp_ieee_inexact 0
		.amdhsa_exception_int_div_zero 0
	.end_amdhsa_kernel
	.section	.text._Z28addBiasResidualPostLayerNormI14__hip_bfloat16Li1ELi64EEvPT_PKS1_S4_S4_S4_fi,"axG",@progbits,_Z28addBiasResidualPostLayerNormI14__hip_bfloat16Li1ELi64EEvPT_PKS1_S4_S4_S4_fi,comdat
.Lfunc_end18:
	.size	_Z28addBiasResidualPostLayerNormI14__hip_bfloat16Li1ELi64EEvPT_PKS1_S4_S4_S4_fi, .Lfunc_end18-_Z28addBiasResidualPostLayerNormI14__hip_bfloat16Li1ELi64EEvPT_PKS1_S4_S4_S4_fi
                                        ; -- End function
	.set _Z28addBiasResidualPostLayerNormI14__hip_bfloat16Li1ELi64EEvPT_PKS1_S4_S4_S4_fi.num_vgpr, 16
	.set _Z28addBiasResidualPostLayerNormI14__hip_bfloat16Li1ELi64EEvPT_PKS1_S4_S4_S4_fi.num_agpr, 0
	.set _Z28addBiasResidualPostLayerNormI14__hip_bfloat16Li1ELi64EEvPT_PKS1_S4_S4_S4_fi.numbered_sgpr, 16
	.set _Z28addBiasResidualPostLayerNormI14__hip_bfloat16Li1ELi64EEvPT_PKS1_S4_S4_S4_fi.num_named_barrier, 0
	.set _Z28addBiasResidualPostLayerNormI14__hip_bfloat16Li1ELi64EEvPT_PKS1_S4_S4_S4_fi.private_seg_size, 0
	.set _Z28addBiasResidualPostLayerNormI14__hip_bfloat16Li1ELi64EEvPT_PKS1_S4_S4_S4_fi.uses_vcc, 1
	.set _Z28addBiasResidualPostLayerNormI14__hip_bfloat16Li1ELi64EEvPT_PKS1_S4_S4_S4_fi.uses_flat_scratch, 0
	.set _Z28addBiasResidualPostLayerNormI14__hip_bfloat16Li1ELi64EEvPT_PKS1_S4_S4_S4_fi.has_dyn_sized_stack, 0
	.set _Z28addBiasResidualPostLayerNormI14__hip_bfloat16Li1ELi64EEvPT_PKS1_S4_S4_S4_fi.has_recursion, 0
	.set _Z28addBiasResidualPostLayerNormI14__hip_bfloat16Li1ELi64EEvPT_PKS1_S4_S4_S4_fi.has_indirect_call, 0
	.section	.AMDGPU.csdata,"",@progbits
; Kernel info:
; codeLenInByte = 1440
; TotalNumSgprs: 18
; NumVgprs: 16
; ScratchSize: 0
; MemoryBound: 0
; FloatMode: 240
; IeeeMode: 1
; LDSByteSize: 72 bytes/workgroup (compile time only)
; SGPRBlocks: 0
; VGPRBlocks: 0
; NumSGPRsForWavesPerEU: 18
; NumVGPRsForWavesPerEU: 16
; NamedBarCnt: 0
; Occupancy: 16
; WaveLimiterHint : 0
; COMPUTE_PGM_RSRC2:SCRATCH_EN: 0
; COMPUTE_PGM_RSRC2:USER_SGPR: 2
; COMPUTE_PGM_RSRC2:TRAP_HANDLER: 0
; COMPUTE_PGM_RSRC2:TGID_X_EN: 1
; COMPUTE_PGM_RSRC2:TGID_Y_EN: 0
; COMPUTE_PGM_RSRC2:TGID_Z_EN: 0
; COMPUTE_PGM_RSRC2:TIDIG_COMP_CNT: 0
	.section	.text._Z28addBiasResidualPostLayerNormI14__hip_bfloat16Li2ELi64EEvPT_PKS1_S4_S4_S4_fi,"axG",@progbits,_Z28addBiasResidualPostLayerNormI14__hip_bfloat16Li2ELi64EEvPT_PKS1_S4_S4_S4_fi,comdat
	.protected	_Z28addBiasResidualPostLayerNormI14__hip_bfloat16Li2ELi64EEvPT_PKS1_S4_S4_S4_fi ; -- Begin function _Z28addBiasResidualPostLayerNormI14__hip_bfloat16Li2ELi64EEvPT_PKS1_S4_S4_S4_fi
	.globl	_Z28addBiasResidualPostLayerNormI14__hip_bfloat16Li2ELi64EEvPT_PKS1_S4_S4_S4_fi
	.p2align	8
	.type	_Z28addBiasResidualPostLayerNormI14__hip_bfloat16Li2ELi64EEvPT_PKS1_S4_S4_S4_fi,@function
_Z28addBiasResidualPostLayerNormI14__hip_bfloat16Li2ELi64EEvPT_PKS1_S4_S4_S4_fi: ; @_Z28addBiasResidualPostLayerNormI14__hip_bfloat16Li2ELi64EEvPT_PKS1_S4_S4_S4_fi
; %bb.0:
	s_clause 0x1
	s_load_b64 s[10:11], s[0:1], 0x28
	s_load_b64 s[8:9], s[0:1], 0x0
	v_dual_mov_b32 v5, 0 :: v_dual_mov_b32 v4, 0
	v_mov_b32_e32 v3, 0
	s_getreg_b32 s14, hwreg(HW_REG_IB_STS2, 6, 4)
	s_wait_kmcnt 0x0
	v_cmp_gt_i32_e64 s2, s11, v0
	s_and_saveexec_b32 s3, s2
	s_cbranch_execz .LBB19_4
; %bb.1:
	s_load_b128 s[4:7], s[0:1], 0x8
	s_bfe_u32 s12, ttmp6, 0x4000c
	s_and_b32 s13, ttmp6, 15
	s_add_co_i32 s12, s12, 1
	s_mov_b32 s15, exec_lo
	s_mul_i32 s12, ttmp9, s12
	s_delay_alu instid0(SALU_CYCLE_1) | instskip(SKIP_4) | instid1(SALU_CYCLE_1)
	s_add_co_i32 s13, s13, s12
	s_cmp_eq_u32 s14, 0
	s_cselect_b32 s12, ttmp9, s13
	s_load_b32 s13, s[0:1], 0x3c
	s_mul_i32 s12, s11, s12
	v_add_nc_u32_e32 v1, s12, v0
	global_load_u16 v2, v1, s[8:9] scale_offset
	s_wait_kmcnt 0x0
	global_load_u16 v3, v1, s[4:5] scale_offset
	global_load_u16 v4, v0, s[6:7] scale_offset
	s_and_b32 s16, s13, 0xffff
	s_mov_b32 s13, 0
	s_wait_loadcnt 0x1
	s_wait_xcnt 0x1
	v_dual_lshlrev_b32 v1, 16, v2 :: v_dual_lshlrev_b32 v2, 16, v3
	s_delay_alu instid0(VALU_DEP_1) | instskip(SKIP_2) | instid1(VALU_DEP_2)
	v_dual_mov_b32 v3, 0 :: v_dual_add_f32 v1, v1, v2
	s_wait_loadcnt 0x0
	v_lshlrev_b32_e32 v2, 16, v4
	v_cvt_pk_bf16_f32 v1, v1, s0
	s_delay_alu instid0(VALU_DEP_1) | instskip(NEXT) | instid1(VALU_DEP_1)
	v_lshlrev_b32_e32 v1, 16, v1
	v_add_f32_e32 v1, v1, v2
	s_delay_alu instid0(VALU_DEP_1) | instskip(NEXT) | instid1(VALU_DEP_1)
	v_cvt_pk_bf16_f32 v1, v1, s0
	v_dual_lshlrev_b32 v4, 16, v1 :: v_dual_add_nc_u32 v1, s16, v0
	s_delay_alu instid0(VALU_DEP_1) | instskip(NEXT) | instid1(VALU_DEP_2)
	v_add_f32_e32 v5, 0, v4
	v_cmpx_gt_u32_e64 s11, v1
	s_cbranch_execz .LBB19_3
; %bb.2:
	v_dual_add_nc_u32 v1, s12, v1 :: v_dual_lshlrev_b32 v2, 1, v0
	s_lshl_b32 s12, s16, 1
	s_clause 0x1
	global_load_u16 v6, v1, s[4:5] scale_offset
	global_load_u16 v7, v1, s[8:9] scale_offset
	v_add_nc_u64_e32 v[2:3], s[6:7], v[2:3]
	s_delay_alu instid0(VALU_DEP_1)
	v_add_nc_u64_e32 v[2:3], s[12:13], v[2:3]
	global_load_u16 v1, v[2:3], off
	s_wait_loadcnt 0x1
	s_wait_xcnt 0x0
	v_dual_lshlrev_b32 v2, 16, v6 :: v_dual_lshlrev_b32 v3, 16, v7
	s_wait_loadcnt 0x0
	s_delay_alu instid0(VALU_DEP_1) | instskip(NEXT) | instid1(VALU_DEP_1)
	v_dual_add_f32 v2, v3, v2 :: v_dual_lshlrev_b32 v1, 16, v1
	v_cvt_pk_bf16_f32 v2, v2, s0
	s_delay_alu instid0(VALU_DEP_1) | instskip(NEXT) | instid1(VALU_DEP_1)
	v_lshlrev_b32_e32 v2, 16, v2
	v_add_f32_e32 v1, v2, v1
	s_delay_alu instid0(VALU_DEP_1) | instskip(NEXT) | instid1(VALU_DEP_1)
	v_cvt_pk_bf16_f32 v1, v1, s0
	v_lshlrev_b32_e32 v3, 16, v1
	s_delay_alu instid0(VALU_DEP_1)
	v_add_f32_e32 v5, v5, v3
.LBB19_3:
	s_or_b32 exec_lo, exec_lo, s15
.LBB19_4:
	s_delay_alu instid0(SALU_CYCLE_1) | instskip(SKIP_1) | instid1(VALU_DEP_1)
	s_or_b32 exec_lo, exec_lo, s3
	v_mbcnt_lo_u32_b32 v2, -1, 0
	v_or_b32_e32 v1, 32, v2
	v_xor_b32_e32 v6, 16, v2
	v_xor_b32_e32 v11, 1, v2
	s_delay_alu instid0(VALU_DEP_3) | instskip(SKIP_1) | instid1(VALU_DEP_4)
	v_cmp_gt_i32_e32 vcc_lo, 64, v1
	v_cndmask_b32_e32 v1, v2, v1, vcc_lo
	v_cmp_gt_i32_e32 vcc_lo, 64, v6
	s_delay_alu instid0(VALU_DEP_2) | instskip(SKIP_3) | instid1(VALU_DEP_1)
	v_dual_cndmask_b32 v6, v2, v6 :: v_dual_lshlrev_b32 v1, 2, v1
	ds_bpermute_b32 v7, v1, v5
	s_wait_dscnt 0x0
	v_dual_add_f32 v5, v5, v7 :: v_dual_bitop2_b32 v7, 8, v2 bitop3:0x14
	v_cmp_gt_i32_e32 vcc_lo, 64, v7
	v_dual_cndmask_b32 v7, v2, v7 :: v_dual_lshlrev_b32 v6, 2, v6
	ds_bpermute_b32 v8, v6, v5
	s_wait_dscnt 0x0
	v_dual_lshlrev_b32 v7, 2, v7 :: v_dual_add_f32 v5, v5, v8
	v_xor_b32_e32 v8, 4, v2
	ds_bpermute_b32 v9, v7, v5
	v_cmp_gt_i32_e32 vcc_lo, 64, v8
	s_wait_dscnt 0x0
	v_dual_cndmask_b32 v8, v2, v8 :: v_dual_add_f32 v5, v5, v9
	s_delay_alu instid0(VALU_DEP_1)
	v_dual_lshlrev_b32 v8, 2, v8 :: v_dual_bitop2_b32 v9, 2, v2 bitop3:0x14
	ds_bpermute_b32 v10, v8, v5
	v_cmp_gt_i32_e32 vcc_lo, 64, v9
	v_cndmask_b32_e32 v9, v2, v9, vcc_lo
	v_cmp_gt_i32_e32 vcc_lo, 64, v11
	s_wait_dscnt 0x0
	s_delay_alu instid0(VALU_DEP_2) | instskip(SKIP_4) | instid1(VALU_DEP_2)
	v_dual_add_f32 v5, v5, v10 :: v_dual_lshlrev_b32 v9, 2, v9
	ds_bpermute_b32 v10, v9, v5
	v_dual_cndmask_b32 v2, v2, v11 :: v_dual_lshrrev_b32 v11, 4, v0
	s_wait_dscnt 0x0
	v_add_f32_e32 v5, v5, v10
	v_dual_lshlrev_b32 v10, 2, v2 :: v_dual_bitop2_b32 v2, 63, v0 bitop3:0x40
	ds_bpermute_b32 v12, v10, v5
	v_cmp_eq_u32_e64 s3, 0, v2
	s_and_saveexec_b32 s4, s3
	s_cbranch_execz .LBB19_6
; %bb.5:
	s_wait_dscnt 0x0
	v_add_f32_e32 v5, v5, v12
	ds_store_b32 v11, v5
.LBB19_6:
	s_or_b32 exec_lo, exec_lo, s4
	s_wait_dscnt 0x0
	s_barrier_signal -1
	s_barrier_wait -1
	s_load_b32 s7, s[0:1], 0x3c
	v_dual_mov_b32 v5, 0 :: v_dual_lshlrev_b32 v12, 2, v2
	s_wait_kmcnt 0x0
	s_bfe_u32 s4, s7, 0xa0006
	s_delay_alu instid0(SALU_CYCLE_1)
	v_cmp_gt_u32_e64 s4, s4, v0
	s_and_saveexec_b32 s5, s4
; %bb.7:
	ds_load_b32 v5, v12
; %bb.8:
	s_or_b32 exec_lo, exec_lo, s5
	s_wait_dscnt 0x0
	ds_bpermute_b32 v2, v1, v5
	v_cmp_eq_u32_e64 s5, 0, v0
	s_cvt_f32_i32 s6, s11
	s_wait_dscnt 0x0
	v_add_f32_e32 v2, v5, v2
	ds_bpermute_b32 v5, v6, v2
	s_wait_dscnt 0x0
	v_add_f32_e32 v2, v2, v5
	ds_bpermute_b32 v5, v7, v2
	;; [unrolled: 3-line block ×5, first 2 shown]
	s_and_saveexec_b32 s12, s5
	s_cbranch_execz .LBB19_10
; %bb.9:
	s_wait_dscnt 0x0
	v_add_f32_e32 v2, v2, v5
	s_delay_alu instid0(VALU_DEP_1) | instskip(SKIP_1) | instid1(VALU_DEP_2)
	v_div_scale_f32 v5, null, s6, s6, v2
	v_div_scale_f32 v15, vcc_lo, v2, s6, v2
	v_rcp_f32_e32 v13, v5
	v_nop
	s_delay_alu instid0(TRANS32_DEP_1) | instskip(NEXT) | instid1(VALU_DEP_1)
	v_fma_f32 v14, -v5, v13, 1.0
	v_fmac_f32_e32 v13, v14, v13
	s_delay_alu instid0(VALU_DEP_1) | instskip(NEXT) | instid1(VALU_DEP_1)
	v_mul_f32_e32 v14, v15, v13
	v_fma_f32 v16, -v5, v14, v15
	s_delay_alu instid0(VALU_DEP_1) | instskip(NEXT) | instid1(VALU_DEP_1)
	v_fmac_f32_e32 v14, v16, v13
	v_fma_f32 v5, -v5, v14, v15
	s_delay_alu instid0(VALU_DEP_1) | instskip(NEXT) | instid1(VALU_DEP_1)
	v_div_fmas_f32 v5, v5, v13, v14
	v_div_fixup_f32 v2, v5, s6, v2
	v_mov_b32_e32 v5, 0
	ds_store_b32 v5, v2 offset:68
.LBB19_10:
	s_or_b32 exec_lo, exec_lo, s12
	s_and_b32 s12, 0xffff, s7
	s_wait_dscnt 0x0
	v_dual_mov_b32 v5, 0 :: v_dual_add_nc_u32 v2, s12, v0
	s_barrier_signal -1
	s_barrier_wait -1
	s_and_saveexec_b32 s7, s2
	s_cbranch_execz .LBB19_12
; %bb.11:
	v_mov_b32_e32 v5, 0
	v_cmp_gt_u32_e32 vcc_lo, s11, v2
	ds_load_b32 v14, v5 offset:68
	v_mov_b32_e32 v5, v3
	s_wait_dscnt 0x0
	s_delay_alu instid0(VALU_DEP_1) | instskip(NEXT) | instid1(VALU_DEP_1)
	v_pk_add_f32 v[14:15], v[4:5], v[14:15] op_sel_hi:[1,0] neg_lo:[0,1] neg_hi:[0,1]
	v_pk_mul_f32 v[14:15], v[14:15], v[14:15]
	s_delay_alu instid0(VALU_DEP_1) | instskip(NEXT) | instid1(VALU_DEP_1)
	v_add_f32_e32 v5, v14, v15
	v_cndmask_b32_e32 v5, v14, v5, vcc_lo
.LBB19_12:
	s_or_b32 exec_lo, exec_lo, s7
	ds_bpermute_b32 v13, v1, v5
	s_wait_dscnt 0x0
	v_add_f32_e32 v5, v5, v13
	ds_bpermute_b32 v13, v6, v5
	s_wait_dscnt 0x0
	v_add_f32_e32 v5, v5, v13
	;; [unrolled: 3-line block ×5, first 2 shown]
	ds_bpermute_b32 v13, v10, v5
	s_and_saveexec_b32 s7, s3
	s_cbranch_execz .LBB19_14
; %bb.13:
	s_wait_dscnt 0x0
	v_add_f32_e32 v5, v5, v13
	ds_store_b32 v11, v5
.LBB19_14:
	s_or_b32 exec_lo, exec_lo, s7
	v_mov_b32_e32 v5, 0
	s_wait_dscnt 0x0
	s_barrier_signal -1
	s_barrier_wait -1
	s_and_saveexec_b32 s3, s4
; %bb.15:
	ds_load_b32 v5, v12
; %bb.16:
	s_or_b32 exec_lo, exec_lo, s3
	s_wait_dscnt 0x0
	ds_bpermute_b32 v1, v1, v5
	s_wait_dscnt 0x0
	v_add_f32_e32 v1, v5, v1
	ds_bpermute_b32 v5, v6, v1
	s_wait_dscnt 0x0
	v_add_f32_e32 v1, v1, v5
	;; [unrolled: 3-line block ×5, first 2 shown]
	ds_bpermute_b32 v5, v10, v1
	s_and_saveexec_b32 s3, s5
	s_cbranch_execz .LBB19_18
; %bb.17:
	s_wait_dscnt 0x0
	v_add_f32_e32 v1, v1, v5
	s_delay_alu instid0(VALU_DEP_1) | instskip(NEXT) | instid1(VALU_DEP_1)
	v_div_scale_f32 v5, null, s6, s6, v1
	v_rcp_f32_e32 v6, v5
	v_nop
	s_delay_alu instid0(TRANS32_DEP_1) | instskip(NEXT) | instid1(VALU_DEP_1)
	v_fma_f32 v7, -v5, v6, 1.0
	v_fmac_f32_e32 v6, v7, v6
	v_div_scale_f32 v8, vcc_lo, v1, s6, v1
	s_delay_alu instid0(VALU_DEP_1) | instskip(NEXT) | instid1(VALU_DEP_1)
	v_mul_f32_e32 v7, v8, v6
	v_fma_f32 v9, -v5, v7, v8
	s_delay_alu instid0(VALU_DEP_1) | instskip(NEXT) | instid1(VALU_DEP_1)
	v_fmac_f32_e32 v7, v9, v6
	v_fma_f32 v5, -v5, v7, v8
	s_delay_alu instid0(VALU_DEP_1) | instskip(NEXT) | instid1(VALU_DEP_1)
	v_div_fmas_f32 v5, v5, v6, v7
	v_div_fixup_f32 v1, v5, s6, v1
	s_delay_alu instid0(VALU_DEP_1)
	v_dual_mov_b32 v5, 0 :: v_dual_add_f32 v1, s10, v1
	ds_store_b32 v5, v1 offset:64
.LBB19_18:
	s_or_b32 exec_lo, exec_lo, s3
	s_wait_dscnt 0x0
	s_barrier_signal -1
	s_barrier_wait -1
	s_and_saveexec_b32 s3, s2
	s_cbranch_execz .LBB19_21
; %bb.19:
	s_load_b128 s[4:7], s[0:1], 0x18
	v_mov_b32_e32 v1, 0
	v_cmp_gt_u32_e32 vcc_lo, s11, v2
	s_wait_kmcnt 0x0
	s_clause 0x1
	global_load_u16 v5, v0, s[4:5] scale_offset
	global_load_u16 v8, v0, s[6:7] scale_offset
	ds_load_b64 v[6:7], v1 offset:64
	s_wait_dscnt 0x0
	v_readfirstlane_b32 s0, v6
	v_sub_f32_e32 v4, v4, v7
	s_cmp_lt_f32 s0, 0x800000
	s_mul_f32 s1, s0, 0x4b800000
	s_delay_alu instid0(SALU_CYCLE_3) | instskip(NEXT) | instid1(SALU_CYCLE_1)
	s_cselect_b32 s0, s1, s0
	v_s_rsq_f32 s0, s0
	s_delay_alu instid0(TRANS32_DEP_1) | instskip(NEXT) | instid1(SALU_CYCLE_3)
	s_mul_f32 s1, s0, 0x45800000
	s_cselect_b32 s2, s1, s0
	s_bfe_u32 s0, ttmp6, 0x4000c
	s_and_b32 s1, ttmp6, 15
	s_add_co_i32 s0, s0, 1
	v_mul_f32_e32 v4, s2, v4
	s_mul_i32 s0, ttmp9, s0
	s_delay_alu instid0(SALU_CYCLE_1)
	s_add_co_i32 s1, s1, s0
	s_cmp_eq_u32 s14, 0
	s_cselect_b32 s0, ttmp9, s1
	s_mov_b32 s1, 0
	s_mul_i32 s3, s11, s0
	s_wait_loadcnt 0x0
	v_fma_mixlo_bf16 v4, v4, v5, v8 op_sel_hi:[0,1,1]
	v_add_nc_u32_e32 v5, s3, v0
	global_store_b16 v5, v4, s[8:9] scale_offset
	s_wait_xcnt 0x0
	s_and_b32 exec_lo, exec_lo, vcc_lo
	s_cbranch_execz .LBB19_21
; %bb.20:
	v_lshlrev_b32_e32 v0, 1, v0
	s_lshl_b32 s0, s12, 1
	s_delay_alu instid0(VALU_DEP_1) | instskip(SKIP_1) | instid1(VALU_DEP_2)
	v_add_nc_u64_e32 v[4:5], s[4:5], v[0:1]
	v_add_nc_u64_e32 v[0:1], s[6:7], v[0:1]
	;; [unrolled: 1-line block ×3, first 2 shown]
	s_delay_alu instid0(VALU_DEP_2) | instskip(SKIP_4) | instid1(VALU_DEP_1)
	v_add_nc_u64_e32 v[0:1], s[0:1], v[0:1]
	global_load_u16 v6, v[4:5], off
	global_load_u16 v8, v[0:1], off
	s_wait_xcnt 0x0
	v_dual_sub_f32 v0, v3, v7 :: v_dual_add_nc_u32 v1, s3, v2
	v_mul_f32_e32 v0, s2, v0
	s_wait_loadcnt 0x0
	s_delay_alu instid0(VALU_DEP_1)
	v_fma_mixlo_bf16 v0, v0, v6, v8 op_sel_hi:[0,1,1]
	global_store_b16 v1, v0, s[8:9] scale_offset
.LBB19_21:
	s_endpgm
	.section	.rodata,"a",@progbits
	.p2align	6, 0x0
	.amdhsa_kernel _Z28addBiasResidualPostLayerNormI14__hip_bfloat16Li2ELi64EEvPT_PKS1_S4_S4_S4_fi
		.amdhsa_group_segment_fixed_size 72
		.amdhsa_private_segment_fixed_size 0
		.amdhsa_kernarg_size 304
		.amdhsa_user_sgpr_count 2
		.amdhsa_user_sgpr_dispatch_ptr 0
		.amdhsa_user_sgpr_queue_ptr 0
		.amdhsa_user_sgpr_kernarg_segment_ptr 1
		.amdhsa_user_sgpr_dispatch_id 0
		.amdhsa_user_sgpr_kernarg_preload_length 0
		.amdhsa_user_sgpr_kernarg_preload_offset 0
		.amdhsa_user_sgpr_private_segment_size 0
		.amdhsa_wavefront_size32 1
		.amdhsa_uses_dynamic_stack 0
		.amdhsa_enable_private_segment 0
		.amdhsa_system_sgpr_workgroup_id_x 1
		.amdhsa_system_sgpr_workgroup_id_y 0
		.amdhsa_system_sgpr_workgroup_id_z 0
		.amdhsa_system_sgpr_workgroup_info 0
		.amdhsa_system_vgpr_workitem_id 0
		.amdhsa_next_free_vgpr 17
		.amdhsa_next_free_sgpr 17
		.amdhsa_named_barrier_count 0
		.amdhsa_reserve_vcc 1
		.amdhsa_float_round_mode_32 0
		.amdhsa_float_round_mode_16_64 0
		.amdhsa_float_denorm_mode_32 3
		.amdhsa_float_denorm_mode_16_64 3
		.amdhsa_fp16_overflow 0
		.amdhsa_memory_ordered 1
		.amdhsa_forward_progress 1
		.amdhsa_inst_pref_size 15
		.amdhsa_round_robin_scheduling 0
		.amdhsa_exception_fp_ieee_invalid_op 0
		.amdhsa_exception_fp_denorm_src 0
		.amdhsa_exception_fp_ieee_div_zero 0
		.amdhsa_exception_fp_ieee_overflow 0
		.amdhsa_exception_fp_ieee_underflow 0
		.amdhsa_exception_fp_ieee_inexact 0
		.amdhsa_exception_int_div_zero 0
	.end_amdhsa_kernel
	.section	.text._Z28addBiasResidualPostLayerNormI14__hip_bfloat16Li2ELi64EEvPT_PKS1_S4_S4_S4_fi,"axG",@progbits,_Z28addBiasResidualPostLayerNormI14__hip_bfloat16Li2ELi64EEvPT_PKS1_S4_S4_S4_fi,comdat
.Lfunc_end19:
	.size	_Z28addBiasResidualPostLayerNormI14__hip_bfloat16Li2ELi64EEvPT_PKS1_S4_S4_S4_fi, .Lfunc_end19-_Z28addBiasResidualPostLayerNormI14__hip_bfloat16Li2ELi64EEvPT_PKS1_S4_S4_S4_fi
                                        ; -- End function
	.set _Z28addBiasResidualPostLayerNormI14__hip_bfloat16Li2ELi64EEvPT_PKS1_S4_S4_S4_fi.num_vgpr, 17
	.set _Z28addBiasResidualPostLayerNormI14__hip_bfloat16Li2ELi64EEvPT_PKS1_S4_S4_S4_fi.num_agpr, 0
	.set _Z28addBiasResidualPostLayerNormI14__hip_bfloat16Li2ELi64EEvPT_PKS1_S4_S4_S4_fi.numbered_sgpr, 17
	.set _Z28addBiasResidualPostLayerNormI14__hip_bfloat16Li2ELi64EEvPT_PKS1_S4_S4_S4_fi.num_named_barrier, 0
	.set _Z28addBiasResidualPostLayerNormI14__hip_bfloat16Li2ELi64EEvPT_PKS1_S4_S4_S4_fi.private_seg_size, 0
	.set _Z28addBiasResidualPostLayerNormI14__hip_bfloat16Li2ELi64EEvPT_PKS1_S4_S4_S4_fi.uses_vcc, 1
	.set _Z28addBiasResidualPostLayerNormI14__hip_bfloat16Li2ELi64EEvPT_PKS1_S4_S4_S4_fi.uses_flat_scratch, 0
	.set _Z28addBiasResidualPostLayerNormI14__hip_bfloat16Li2ELi64EEvPT_PKS1_S4_S4_S4_fi.has_dyn_sized_stack, 0
	.set _Z28addBiasResidualPostLayerNormI14__hip_bfloat16Li2ELi64EEvPT_PKS1_S4_S4_S4_fi.has_recursion, 0
	.set _Z28addBiasResidualPostLayerNormI14__hip_bfloat16Li2ELi64EEvPT_PKS1_S4_S4_S4_fi.has_indirect_call, 0
	.section	.AMDGPU.csdata,"",@progbits
; Kernel info:
; codeLenInByte = 1816
; TotalNumSgprs: 19
; NumVgprs: 17
; ScratchSize: 0
; MemoryBound: 0
; FloatMode: 240
; IeeeMode: 1
; LDSByteSize: 72 bytes/workgroup (compile time only)
; SGPRBlocks: 0
; VGPRBlocks: 1
; NumSGPRsForWavesPerEU: 19
; NumVGPRsForWavesPerEU: 17
; NamedBarCnt: 0
; Occupancy: 16
; WaveLimiterHint : 0
; COMPUTE_PGM_RSRC2:SCRATCH_EN: 0
; COMPUTE_PGM_RSRC2:USER_SGPR: 2
; COMPUTE_PGM_RSRC2:TRAP_HANDLER: 0
; COMPUTE_PGM_RSRC2:TGID_X_EN: 1
; COMPUTE_PGM_RSRC2:TGID_Y_EN: 0
; COMPUTE_PGM_RSRC2:TGID_Z_EN: 0
; COMPUTE_PGM_RSRC2:TIDIG_COMP_CNT: 0
	.section	.text._Z35generalAddBiasResidualPostLayerNormI14__hip_bfloat16Li64EEvPT_PKS1_S4_S4_S4_fi,"axG",@progbits,_Z35generalAddBiasResidualPostLayerNormI14__hip_bfloat16Li64EEvPT_PKS1_S4_S4_S4_fi,comdat
	.protected	_Z35generalAddBiasResidualPostLayerNormI14__hip_bfloat16Li64EEvPT_PKS1_S4_S4_S4_fi ; -- Begin function _Z35generalAddBiasResidualPostLayerNormI14__hip_bfloat16Li64EEvPT_PKS1_S4_S4_S4_fi
	.globl	_Z35generalAddBiasResidualPostLayerNormI14__hip_bfloat16Li64EEvPT_PKS1_S4_S4_S4_fi
	.p2align	8
	.type	_Z35generalAddBiasResidualPostLayerNormI14__hip_bfloat16Li64EEvPT_PKS1_S4_S4_S4_fi,@function
_Z35generalAddBiasResidualPostLayerNormI14__hip_bfloat16Li64EEvPT_PKS1_S4_S4_S4_fi: ; @_Z35generalAddBiasResidualPostLayerNormI14__hip_bfloat16Li64EEvPT_PKS1_S4_S4_S4_fi
; %bb.0:
	s_clause 0x1
	s_load_b64 s[10:11], s[0:1], 0x28
	s_load_b64 s[8:9], s[0:1], 0x0
	v_mov_b32_e32 v3, 0
	s_getreg_b32 s15, hwreg(HW_REG_IB_STS2, 6, 4)
	s_wait_kmcnt 0x0
	s_lshr_b32 s2, s11, 31
	s_delay_alu instid0(SALU_CYCLE_1) | instskip(NEXT) | instid1(SALU_CYCLE_1)
	s_add_co_i32 s2, s11, s2
	s_ashr_i32 s14, s2, 1
	s_delay_alu instid0(SALU_CYCLE_1)
	v_cmp_gt_i32_e64 s2, s14, v0
	s_and_saveexec_b32 s3, s2
	s_cbranch_execz .LBB20_4
; %bb.1:
	s_clause 0x1
	s_load_b128 s[4:7], s[0:1], 0x8
	s_load_b32 s12, s[0:1], 0x3c
	s_bfe_u32 s13, ttmp6, 0x4000c
	v_dual_mov_b32 v3, 0 :: v_dual_lshlrev_b32 v2, 2, v0
	s_add_co_i32 s13, s13, 1
	s_and_b32 s16, ttmp6, 15
	s_mul_i32 s13, ttmp9, s13
	v_mov_b32_e32 v1, v0
	s_add_co_i32 s16, s16, s13
	s_cmp_eq_u32 s15, 0
	s_mov_b32 s13, 0
	s_cselect_b32 s16, ttmp9, s16
	s_delay_alu instid0(SALU_CYCLE_1)
	s_mul_i32 s16, s11, s16
	s_wait_kmcnt 0x0
	v_add_nc_u64_e32 v[4:5], s[6:7], v[2:3]
	s_and_b32 s6, s12, 0xffff
	s_lshr_b32 s7, s16, 1
	s_lshl_b32 s12, s6, 2
	s_mov_b32 s16, s13
.LBB20_2:                               ; =>This Inner Loop Header: Depth=1
	v_add_nc_u32_e32 v2, s7, v1
	s_clause 0x1
	global_load_b32 v6, v2, s[8:9] scale_offset
	global_load_b32 v7, v2, s[4:5] scale_offset
	global_load_b32 v8, v[4:5], off
	s_wait_xcnt 0x0
	v_add_nc_u64_e32 v[4:5], s[12:13], v[4:5]
	s_wait_loadcnt 0x1
	v_pk_add_bf16 v6, v6, v7
	s_wait_loadcnt 0x0
	s_delay_alu instid0(VALU_DEP_1) | instskip(NEXT) | instid1(VALU_DEP_1)
	v_pk_add_bf16 v6, v6, v8
	v_dual_lshlrev_b32 v7, 16, v6 :: v_dual_add_nc_u32 v1, s6, v1
	v_and_b32_e32 v8, 0xffff0000, v6
	global_store_b32 v2, v6, s[8:9] scale_offset
	v_add_f32_e32 v3, v3, v7
	v_cmp_le_i32_e32 vcc_lo, s14, v1
	s_delay_alu instid0(VALU_DEP_2)
	v_add_f32_e32 v3, v3, v8
	s_or_b32 s16, vcc_lo, s16
	s_wait_xcnt 0x0
	s_and_not1_b32 exec_lo, exec_lo, s16
	s_cbranch_execnz .LBB20_2
; %bb.3:
	s_or_b32 exec_lo, exec_lo, s16
.LBB20_4:
	s_delay_alu instid0(SALU_CYCLE_1) | instskip(SKIP_2) | instid1(VALU_DEP_1)
	s_or_b32 exec_lo, exec_lo, s3
	v_mbcnt_lo_u32_b32 v2, -1, 0
	s_load_b128 s[4:7], s[0:1], 0x18
	v_xor_b32_e32 v4, 16, v2
	v_or_b32_e32 v1, 32, v2
	v_xor_b32_e32 v9, 1, v2
	s_delay_alu instid0(VALU_DEP_2) | instskip(SKIP_3) | instid1(VALU_DEP_1)
	v_cmp_gt_i32_e32 vcc_lo, 64, v1
	v_cndmask_b32_e32 v1, v2, v1, vcc_lo
	v_cmp_gt_i32_e32 vcc_lo, 64, v4
	v_cndmask_b32_e32 v4, v2, v4, vcc_lo
	v_dual_lshlrev_b32 v4, 2, v4 :: v_dual_lshlrev_b32 v1, 2, v1
	ds_bpermute_b32 v5, v1, v3
	s_wait_dscnt 0x0
	v_dual_add_f32 v3, v3, v5 :: v_dual_bitop2_b32 v5, 8, v2 bitop3:0x14
	ds_bpermute_b32 v6, v4, v3
	v_cmp_gt_i32_e32 vcc_lo, 64, v5
	s_wait_dscnt 0x0
	v_dual_cndmask_b32 v5, v2, v5, vcc_lo :: v_dual_add_f32 v3, v3, v6
	s_delay_alu instid0(VALU_DEP_1)
	v_dual_lshlrev_b32 v5, 2, v5 :: v_dual_bitop2_b32 v6, 4, v2 bitop3:0x14
	ds_bpermute_b32 v7, v5, v3
	v_cmp_gt_i32_e32 vcc_lo, 64, v6
	s_wait_dscnt 0x0
	v_dual_cndmask_b32 v6, v2, v6 :: v_dual_add_f32 v3, v3, v7
	v_xor_b32_e32 v7, 2, v2
	s_delay_alu instid0(VALU_DEP_1) | instskip(NEXT) | instid1(VALU_DEP_3)
	v_cmp_gt_i32_e32 vcc_lo, 64, v7
	v_dual_cndmask_b32 v7, v2, v7 :: v_dual_lshlrev_b32 v6, 2, v6
	ds_bpermute_b32 v8, v6, v3
	v_cmp_gt_i32_e32 vcc_lo, 64, v9
	s_wait_dscnt 0x0
	v_dual_lshlrev_b32 v7, 2, v7 :: v_dual_add_f32 v3, v3, v8
	ds_bpermute_b32 v8, v7, v3
	v_dual_cndmask_b32 v2, v2, v9 :: v_dual_lshrrev_b32 v9, 4, v0
	s_wait_dscnt 0x0
	s_delay_alu instid0(VALU_DEP_1)
	v_dual_add_f32 v3, v3, v8 :: v_dual_lshlrev_b32 v8, 2, v2
	v_and_b32_e32 v2, 63, v0
	ds_bpermute_b32 v10, v8, v3
	v_cmp_eq_u32_e64 s3, 0, v2
	s_and_saveexec_b32 s12, s3
	s_cbranch_execz .LBB20_6
; %bb.5:
	s_wait_dscnt 0x0
	v_add_f32_e32 v3, v3, v10
	ds_store_b32 v9, v3
.LBB20_6:
	s_or_b32 exec_lo, exec_lo, s12
	s_wait_storecnt_dscnt 0x0
	s_barrier_signal -1
	s_barrier_wait -1
	s_load_b32 s12, s[0:1], 0x3c
	v_dual_mov_b32 v3, 0 :: v_dual_lshlrev_b32 v10, 2, v2
	s_wait_kmcnt 0x0
	s_bfe_u32 s0, s12, 0xa0006
	s_delay_alu instid0(SALU_CYCLE_1)
	v_cmp_gt_u32_e64 s0, s0, v0
	s_and_saveexec_b32 s1, s0
; %bb.7:
	ds_load_b32 v3, v10
; %bb.8:
	s_or_b32 exec_lo, exec_lo, s1
	s_wait_dscnt 0x0
	ds_bpermute_b32 v2, v1, v3
	v_cmp_eq_u32_e64 s1, 0, v0
	s_cvt_f32_i32 s13, s11
	s_wait_dscnt 0x0
	v_add_f32_e32 v2, v3, v2
	ds_bpermute_b32 v3, v4, v2
	s_wait_dscnt 0x0
	v_add_f32_e32 v2, v2, v3
	ds_bpermute_b32 v3, v5, v2
	;; [unrolled: 3-line block ×5, first 2 shown]
	s_and_saveexec_b32 s16, s1
	s_cbranch_execz .LBB20_10
; %bb.9:
	s_wait_dscnt 0x0
	v_add_f32_e32 v2, v2, v3
	s_delay_alu instid0(VALU_DEP_1) | instskip(SKIP_1) | instid1(VALU_DEP_2)
	v_div_scale_f32 v3, null, s13, s13, v2
	v_div_scale_f32 v13, vcc_lo, v2, s13, v2
	v_rcp_f32_e32 v11, v3
	v_nop
	s_delay_alu instid0(TRANS32_DEP_1) | instskip(NEXT) | instid1(VALU_DEP_1)
	v_fma_f32 v12, -v3, v11, 1.0
	v_fmac_f32_e32 v11, v12, v11
	s_delay_alu instid0(VALU_DEP_1) | instskip(NEXT) | instid1(VALU_DEP_1)
	v_mul_f32_e32 v12, v13, v11
	v_fma_f32 v14, -v3, v12, v13
	s_delay_alu instid0(VALU_DEP_1) | instskip(NEXT) | instid1(VALU_DEP_1)
	v_fmac_f32_e32 v12, v14, v11
	v_fma_f32 v3, -v3, v12, v13
	s_delay_alu instid0(VALU_DEP_1) | instskip(NEXT) | instid1(VALU_DEP_1)
	v_div_fmas_f32 v3, v3, v11, v12
	v_div_fixup_f32 v2, v3, s13, v2
	v_mov_b32_e32 v3, 0
	ds_store_b32 v3, v2 offset:68
.LBB20_10:
	s_or_b32 exec_lo, exec_lo, s16
	s_bfe_u32 s16, ttmp6, 0x4000c
	s_and_b32 s17, ttmp6, 15
	s_add_co_i32 s16, s16, 1
	v_mov_b32_e32 v11, 0
	s_mul_i32 s16, ttmp9, s16
	s_wait_dscnt 0x0
	s_add_co_i32 s17, s17, s16
	s_cmp_eq_u32 s15, 0
	s_barrier_signal -1
	s_cselect_b32 s15, ttmp9, s17
	s_and_b32 s12, 0xffff, s12
	s_mul_i32 s11, s11, s15
	s_barrier_wait -1
	s_and_saveexec_b32 s15, s2
	s_cbranch_execz .LBB20_14
; %bb.11:
	v_dual_mov_b32 v11, 0 :: v_dual_mov_b32 v12, v0
	s_lshr_b32 s17, s11, 1
	s_mov_b32 s16, 0
	ds_load_b32 v2, v11 offset:68
	s_wait_dscnt 0x0
	v_mov_b32_e32 v3, v2
.LBB20_12:                              ; =>This Inner Loop Header: Depth=1
	v_dual_add_nc_u32 v13, s17, v12 :: v_dual_add_nc_u32 v12, s12, v12
	global_load_b32 v13, v13, s[8:9] scale_offset
	v_cmp_le_i32_e32 vcc_lo, s14, v12
	s_or_b32 s16, vcc_lo, s16
	s_wait_loadcnt 0x0
	v_and_b32_e32 v15, 0xffff0000, v13
	v_lshlrev_b32_e32 v14, 16, v13
	s_delay_alu instid0(VALU_DEP_1) | instskip(NEXT) | instid1(VALU_DEP_1)
	v_pk_add_f32 v[14:15], v[14:15], v[2:3] neg_lo:[0,1] neg_hi:[0,1]
	v_pk_mul_f32 v[14:15], v[14:15], v[14:15]
	s_delay_alu instid0(VALU_DEP_1) | instskip(NEXT) | instid1(VALU_DEP_1)
	v_add_f32_e32 v11, v11, v14
	v_add_f32_e32 v11, v15, v11
	s_and_not1_b32 exec_lo, exec_lo, s16
	s_cbranch_execnz .LBB20_12
; %bb.13:
	s_or_b32 exec_lo, exec_lo, s16
.LBB20_14:
	s_delay_alu instid0(SALU_CYCLE_1)
	s_or_b32 exec_lo, exec_lo, s15
	ds_bpermute_b32 v2, v1, v11
	s_wait_dscnt 0x0
	v_add_f32_e32 v2, v11, v2
	ds_bpermute_b32 v3, v4, v2
	s_wait_dscnt 0x0
	v_add_f32_e32 v2, v2, v3
	;; [unrolled: 3-line block ×5, first 2 shown]
	ds_bpermute_b32 v3, v8, v2
	s_and_saveexec_b32 s15, s3
	s_cbranch_execz .LBB20_16
; %bb.15:
	s_wait_dscnt 0x0
	v_add_f32_e32 v2, v2, v3
	ds_store_b32 v9, v2
.LBB20_16:
	s_or_b32 exec_lo, exec_lo, s15
	v_mov_b32_e32 v2, 0
	s_wait_dscnt 0x0
	s_barrier_signal -1
	s_barrier_wait -1
	s_and_saveexec_b32 s3, s0
; %bb.17:
	ds_load_b32 v2, v10
; %bb.18:
	s_or_b32 exec_lo, exec_lo, s3
	s_wait_dscnt 0x0
	ds_bpermute_b32 v1, v1, v2
	s_wait_dscnt 0x0
	v_add_f32_e32 v1, v2, v1
	ds_bpermute_b32 v2, v4, v1
	s_wait_dscnt 0x0
	v_add_f32_e32 v1, v1, v2
	;; [unrolled: 3-line block ×5, first 2 shown]
	ds_bpermute_b32 v2, v8, v1
	s_and_saveexec_b32 s0, s1
	s_cbranch_execz .LBB20_20
; %bb.19:
	s_wait_dscnt 0x0
	v_add_f32_e32 v1, v1, v2
	s_delay_alu instid0(VALU_DEP_1) | instskip(NEXT) | instid1(VALU_DEP_1)
	v_div_scale_f32 v2, null, s13, s13, v1
	v_rcp_f32_e32 v3, v2
	v_nop
	s_delay_alu instid0(TRANS32_DEP_1) | instskip(NEXT) | instid1(VALU_DEP_1)
	v_fma_f32 v4, -v2, v3, 1.0
	v_fmac_f32_e32 v3, v4, v3
	v_div_scale_f32 v5, vcc_lo, v1, s13, v1
	s_delay_alu instid0(VALU_DEP_1) | instskip(NEXT) | instid1(VALU_DEP_1)
	v_mul_f32_e32 v4, v5, v3
	v_fma_f32 v6, -v2, v4, v5
	s_delay_alu instid0(VALU_DEP_1) | instskip(NEXT) | instid1(VALU_DEP_1)
	v_fmac_f32_e32 v4, v6, v3
	v_fma_f32 v2, -v2, v4, v5
	s_delay_alu instid0(VALU_DEP_1) | instskip(NEXT) | instid1(VALU_DEP_1)
	v_div_fmas_f32 v2, v2, v3, v4
	v_div_fixup_f32 v1, v2, s13, v1
	s_delay_alu instid0(VALU_DEP_1) | instskip(NEXT) | instid1(VALU_DEP_1)
	v_add_f32_e32 v1, s10, v1
	v_mul_f32_e32 v2, 0x4b800000, v1
	v_cmp_gt_f32_e32 vcc_lo, 0x800000, v1
	s_delay_alu instid0(VALU_DEP_2) | instskip(NEXT) | instid1(VALU_DEP_1)
	v_cndmask_b32_e32 v1, v1, v2, vcc_lo
	v_rsq_f32_e32 v1, v1
	v_nop
	s_delay_alu instid0(TRANS32_DEP_1) | instskip(NEXT) | instid1(VALU_DEP_1)
	v_mul_f32_e32 v2, 0x45800000, v1
	v_dual_cndmask_b32 v1, v1, v2 :: v_dual_mov_b32 v2, 0
	ds_store_b32 v2, v1 offset:64
.LBB20_20:
	s_or_b32 exec_lo, exec_lo, s0
	s_wait_dscnt 0x0
	s_barrier_signal -1
	s_barrier_wait -1
	s_and_saveexec_b32 s0, s2
	s_cbranch_execz .LBB20_30
; %bb.21:
	v_mov_b32_e32 v1, 0
	s_lshr_b32 s2, s11, 1
	s_mov_b32 s3, exec_lo
	ds_load_b64 v[2:3], v1 offset:64
	v_add_max_i32_e64 v1, v0, 1, s14
	s_delay_alu instid0(VALU_DEP_1) | instskip(NEXT) | instid1(VALU_DEP_1)
	v_sub_nc_u32_e32 v12, v1, v0
	v_cmp_gt_u32_e64 s1, 10, v12
	v_cmpx_lt_u32_e32 9, v12
	s_cbranch_execz .LBB20_27
; %bb.22:
	s_cvt_f32_u32 s0, s12
	v_add_nc_u32_e32 v4, s12, v0
	s_cmp_eq_u32 s12, 1
	s_cselect_b32 s11, -1, 0
	v_rcp_iflag_f32_e32 v1, s0
	s_delay_alu instid0(VALU_DEP_1) | instskip(SKIP_1) | instid1(TRANS32_DEP_1)
	v_cmp_gt_i32_e32 vcc_lo, s14, v4
	s_sub_co_i32 s10, 0, s12
	v_readfirstlane_b32 s0, v1
	v_max_i32_e32 v1, s14, v4
	v_add_co_ci_u32_e64 v4, null, s12, v0, vcc_lo
	s_mul_f32 s0, s0, 0x4f7ffffe
	v_sub_nc_u32_e32 v1, v1, v4
	s_delay_alu instid0(SALU_CYCLE_2) | instskip(NEXT) | instid1(SALU_CYCLE_3)
	s_cvt_u32_f32 s0, s0
	s_mul_i32 s10, s10, s0
	s_delay_alu instid0(SALU_CYCLE_1) | instskip(NEXT) | instid1(SALU_CYCLE_1)
	s_mul_hi_u32 s10, s0, s10
	s_add_co_i32 s0, s0, s10
	s_mov_b32 s10, 0
	v_mul_hi_u32 v4, v1, s0
	s_delay_alu instid0(VALU_DEP_1) | instskip(NEXT) | instid1(VALU_DEP_1)
	v_mul_lo_u32 v5, v4, s12
	v_dual_sub_nc_u32 v1, v1, v5 :: v_dual_add_nc_u32 v5, 1, v4
	s_delay_alu instid0(VALU_DEP_1) | instskip(SKIP_1) | instid1(VALU_DEP_1)
	v_subrev_nc_u32_e32 v6, s12, v1
	v_cmp_le_u32_e64 s0, s12, v1
	v_dual_cndmask_b32 v4, v4, v5, s0 :: v_dual_cndmask_b32 v1, v1, v6, s0
	s_delay_alu instid0(VALU_DEP_1) | instskip(NEXT) | instid1(VALU_DEP_2)
	v_add_nc_u32_e32 v5, 1, v4
	v_cmp_le_u32_e64 s0, s12, v1
	s_delay_alu instid0(VALU_DEP_1) | instskip(NEXT) | instid1(VALU_DEP_1)
	v_dual_add_nc_u32 v6, s2, v0 :: v_dual_cndmask_b32 v1, v4, v5, s0
	v_add_co_ci_u32_e64 v1, null, v6, v1, vcc_lo
	s_delay_alu instid0(VALU_DEP_1)
	v_cmp_ge_i32_e32 vcc_lo, v1, v6
	s_and_b32 s13, s11, vcc_lo
	s_mov_b32 s11, -1
	s_and_saveexec_b32 s0, s13
	s_cbranch_execz .LBB20_26
; %bb.23:
	s_wait_dscnt 0x0
	v_dual_mov_b32 v5, v3 :: v_dual_add_nc_u32 v1, 1, v0
	v_dual_mov_b32 v4, v3 :: v_dual_bitop2_b32 v13, -2, v12 bitop3:0x40
	v_dual_mov_b32 v6, v2 :: v_dual_mov_b32 v7, v2
	s_delay_alu instid0(VALU_DEP_3) | instskip(NEXT) | instid1(VALU_DEP_3)
	v_mov_b64_e32 v[10:11], v[0:1]
	v_dual_mov_b32 v9, 0 :: v_dual_mov_b32 v14, v13
	s_mov_b32 s11, s2
.LBB20_24:                              ; =>This Inner Loop Header: Depth=1
	s_delay_alu instid0(VALU_DEP_2) | instskip(NEXT) | instid1(VALU_DEP_2)
	v_dual_mov_b32 v8, v10 :: v_dual_add_nc_u32 v1, s2, v10
	v_dual_add_nc_u32 v15, s11, v11 :: v_dual_add_nc_u32 v14, -2, v14
	v_add_nc_u32_e32 v10, 2, v10
	s_delay_alu instid0(VALU_DEP_3)
	v_lshlrev_b64_e32 v[16:17], 2, v[8:9]
	v_mov_b32_e32 v8, v11
	s_clause 0x1
	global_load_b32 v24, v15, s[8:9] scale_offset
	global_load_b32 v25, v1, s[8:9] scale_offset
	v_add_nc_u32_e32 v11, 2, v11
	v_cmp_eq_u32_e32 vcc_lo, 0, v14
	v_lshlrev_b64_e32 v[18:19], 2, v[8:9]
	v_add_nc_u64_e32 v[20:21], s[4:5], v[16:17]
	v_add_nc_u64_e32 v[16:17], s[6:7], v[16:17]
	s_or_b32 s10, vcc_lo, s10
	s_delay_alu instid0(VALU_DEP_3)
	v_add_nc_u64_e32 v[22:23], s[4:5], v[18:19]
	v_add_nc_u64_e32 v[18:19], s[6:7], v[18:19]
	s_clause 0x1
	global_load_b32 v8, v[22:23], off
	global_load_b32 v26, v[20:21], off
	s_clause 0x1
	global_load_b32 v27, v[18:19], off
	global_load_b32 v28, v[16:17], off
	s_wait_loadcnt 0x4
	s_wait_xcnt 0x0
	v_dual_lshlrev_b32 v17, 16, v24 :: v_dual_lshlrev_b32 v16, 16, v25
	v_and_b32_e32 v19, 0xffff0000, v24
	v_and_b32_e32 v18, 0xffff0000, v25
	s_delay_alu instid0(VALU_DEP_3) | instskip(NEXT) | instid1(VALU_DEP_2)
	v_pk_add_f32 v[16:17], v[16:17], v[4:5] neg_lo:[0,1] neg_hi:[0,1]
	v_pk_add_f32 v[18:19], v[18:19], v[4:5] neg_lo:[0,1] neg_hi:[0,1]
	s_delay_alu instid0(VALU_DEP_2) | instskip(NEXT) | instid1(VALU_DEP_2)
	v_pk_mul_f32 v[16:17], v[16:17], v[6:7]
	v_pk_mul_f32 v[18:19], v[18:19], v[6:7]
	s_wait_loadcnt 0x2
	v_dual_lshlrev_b32 v21, 16, v8 :: v_dual_lshlrev_b32 v20, 16, v26
	v_and_b32_e32 v23, 0xffff0000, v8
	v_and_b32_e32 v22, 0xffff0000, v26
	s_wait_loadcnt 0x0
	v_dual_lshlrev_b32 v25, 16, v27 :: v_dual_lshlrev_b32 v24, 16, v28
	v_and_b32_e32 v27, 0xffff0000, v27
	v_and_b32_e32 v26, 0xffff0000, v28
	s_delay_alu instid0(VALU_DEP_3) | instskip(NEXT) | instid1(VALU_DEP_2)
	v_pk_fma_f32 v[16:17], v[16:17], v[20:21], v[24:25]
	v_pk_fma_f32 v[18:19], v[18:19], v[22:23], v[26:27]
	s_delay_alu instid0(VALU_DEP_2) | instskip(NEXT) | instid1(VALU_DEP_2)
	v_cvt_pk_bf16_f32 v8, v16, v17
	v_cvt_pk_bf16_f32 v16, v18, v19
	s_delay_alu instid0(VALU_DEP_1)
	v_perm_b32 v17, v16, v8, 0x5040100
	v_perm_b32 v8, v16, v8, 0x7060302
	s_clause 0x1
	global_store_b32 v1, v17, s[8:9] scale_offset
	global_store_b32 v15, v8, s[8:9] scale_offset
	s_wait_xcnt 0x0
	s_and_not1_b32 exec_lo, exec_lo, s10
	s_cbranch_execnz .LBB20_24
; %bb.25:
	s_or_b32 exec_lo, exec_lo, s10
	v_cmp_ne_u32_e32 vcc_lo, v12, v13
	v_add_nc_u32_e32 v0, v0, v13
	s_or_not1_b32 s11, vcc_lo, exec_lo
.LBB20_26:
	s_or_b32 exec_lo, exec_lo, s0
	s_delay_alu instid0(SALU_CYCLE_1) | instskip(SKIP_1) | instid1(SALU_CYCLE_1)
	s_and_not1_b32 s0, s1, exec_lo
	s_and_b32 s1, s11, exec_lo
	s_or_b32 s1, s0, s1
.LBB20_27:
	s_or_b32 exec_lo, exec_lo, s3
	s_delay_alu instid0(SALU_CYCLE_1)
	s_and_b32 exec_lo, exec_lo, s1
	s_cbranch_execz .LBB20_30
; %bb.28:
	s_wait_dscnt 0x0
	v_dual_mov_b32 v1, 0 :: v_dual_mov_b32 v4, v3
	v_dual_mov_b32 v5, v3 :: v_dual_mov_b32 v3, v2
	s_mov_b32 s1, 0
	s_delay_alu instid0(VALU_DEP_2)
	v_lshlrev_b64_e32 v[6:7], 2, v[0:1]
	s_lshl_b32 s0, s12, 2
	s_mov_b32 s3, s1
.LBB20_29:                              ; =>This Inner Loop Header: Depth=1
	v_add_nc_u32_e32 v1, s2, v0
	s_delay_alu instid0(VALU_DEP_2)
	v_add_nc_u64_e32 v[8:9], s[4:5], v[6:7]
	v_add_nc_u64_e32 v[10:11], s[6:7], v[6:7]
	v_add_nc_u32_e32 v0, s12, v0
	v_add_nc_u64_e32 v[6:7], s[0:1], v[6:7]
	global_load_b32 v12, v1, s[8:9] scale_offset
	global_load_b32 v13, v[8:9], off
	global_load_b32 v14, v[10:11], off
	v_cmp_le_i32_e32 vcc_lo, s14, v0
	s_or_b32 s3, vcc_lo, s3
	s_wait_loadcnt 0x2
	s_wait_xcnt 0x1
	v_and_b32_e32 v9, 0xffff0000, v12
	v_lshlrev_b32_e32 v8, 16, v12
	s_wait_loadcnt 0x1
	s_wait_xcnt 0x0
	v_and_b32_e32 v11, 0xffff0000, v13
	s_wait_loadcnt 0x0
	v_dual_lshlrev_b32 v12, 16, v14 :: v_dual_lshlrev_b32 v10, 16, v13
	v_and_b32_e32 v13, 0xffff0000, v14
	v_pk_add_f32 v[8:9], v[8:9], v[4:5] neg_lo:[0,1] neg_hi:[0,1]
	s_delay_alu instid0(VALU_DEP_1) | instskip(NEXT) | instid1(VALU_DEP_1)
	v_pk_mul_f32 v[8:9], v[8:9], v[2:3]
	v_pk_fma_f32 v[8:9], v[8:9], v[10:11], v[12:13]
	s_delay_alu instid0(VALU_DEP_1)
	v_cvt_pk_bf16_f32 v8, v8, v9
	global_store_b32 v1, v8, s[8:9] scale_offset
	s_wait_xcnt 0x0
	s_and_not1_b32 exec_lo, exec_lo, s3
	s_cbranch_execnz .LBB20_29
.LBB20_30:
	s_endpgm
	.section	.rodata,"a",@progbits
	.p2align	6, 0x0
	.amdhsa_kernel _Z35generalAddBiasResidualPostLayerNormI14__hip_bfloat16Li64EEvPT_PKS1_S4_S4_S4_fi
		.amdhsa_group_segment_fixed_size 72
		.amdhsa_private_segment_fixed_size 0
		.amdhsa_kernarg_size 304
		.amdhsa_user_sgpr_count 2
		.amdhsa_user_sgpr_dispatch_ptr 0
		.amdhsa_user_sgpr_queue_ptr 0
		.amdhsa_user_sgpr_kernarg_segment_ptr 1
		.amdhsa_user_sgpr_dispatch_id 0
		.amdhsa_user_sgpr_kernarg_preload_length 0
		.amdhsa_user_sgpr_kernarg_preload_offset 0
		.amdhsa_user_sgpr_private_segment_size 0
		.amdhsa_wavefront_size32 1
		.amdhsa_uses_dynamic_stack 0
		.amdhsa_enable_private_segment 0
		.amdhsa_system_sgpr_workgroup_id_x 1
		.amdhsa_system_sgpr_workgroup_id_y 0
		.amdhsa_system_sgpr_workgroup_id_z 0
		.amdhsa_system_sgpr_workgroup_info 0
		.amdhsa_system_vgpr_workitem_id 0
		.amdhsa_next_free_vgpr 29
		.amdhsa_next_free_sgpr 18
		.amdhsa_named_barrier_count 0
		.amdhsa_reserve_vcc 1
		.amdhsa_float_round_mode_32 0
		.amdhsa_float_round_mode_16_64 0
		.amdhsa_float_denorm_mode_32 3
		.amdhsa_float_denorm_mode_16_64 3
		.amdhsa_fp16_overflow 0
		.amdhsa_memory_ordered 1
		.amdhsa_forward_progress 1
		.amdhsa_inst_pref_size 21
		.amdhsa_round_robin_scheduling 0
		.amdhsa_exception_fp_ieee_invalid_op 0
		.amdhsa_exception_fp_denorm_src 0
		.amdhsa_exception_fp_ieee_div_zero 0
		.amdhsa_exception_fp_ieee_overflow 0
		.amdhsa_exception_fp_ieee_underflow 0
		.amdhsa_exception_fp_ieee_inexact 0
		.amdhsa_exception_int_div_zero 0
	.end_amdhsa_kernel
	.section	.text._Z35generalAddBiasResidualPostLayerNormI14__hip_bfloat16Li64EEvPT_PKS1_S4_S4_S4_fi,"axG",@progbits,_Z35generalAddBiasResidualPostLayerNormI14__hip_bfloat16Li64EEvPT_PKS1_S4_S4_S4_fi,comdat
.Lfunc_end20:
	.size	_Z35generalAddBiasResidualPostLayerNormI14__hip_bfloat16Li64EEvPT_PKS1_S4_S4_S4_fi, .Lfunc_end20-_Z35generalAddBiasResidualPostLayerNormI14__hip_bfloat16Li64EEvPT_PKS1_S4_S4_S4_fi
                                        ; -- End function
	.set _Z35generalAddBiasResidualPostLayerNormI14__hip_bfloat16Li64EEvPT_PKS1_S4_S4_S4_fi.num_vgpr, 29
	.set _Z35generalAddBiasResidualPostLayerNormI14__hip_bfloat16Li64EEvPT_PKS1_S4_S4_S4_fi.num_agpr, 0
	.set _Z35generalAddBiasResidualPostLayerNormI14__hip_bfloat16Li64EEvPT_PKS1_S4_S4_S4_fi.numbered_sgpr, 18
	.set _Z35generalAddBiasResidualPostLayerNormI14__hip_bfloat16Li64EEvPT_PKS1_S4_S4_S4_fi.num_named_barrier, 0
	.set _Z35generalAddBiasResidualPostLayerNormI14__hip_bfloat16Li64EEvPT_PKS1_S4_S4_S4_fi.private_seg_size, 0
	.set _Z35generalAddBiasResidualPostLayerNormI14__hip_bfloat16Li64EEvPT_PKS1_S4_S4_S4_fi.uses_vcc, 1
	.set _Z35generalAddBiasResidualPostLayerNormI14__hip_bfloat16Li64EEvPT_PKS1_S4_S4_S4_fi.uses_flat_scratch, 0
	.set _Z35generalAddBiasResidualPostLayerNormI14__hip_bfloat16Li64EEvPT_PKS1_S4_S4_S4_fi.has_dyn_sized_stack, 0
	.set _Z35generalAddBiasResidualPostLayerNormI14__hip_bfloat16Li64EEvPT_PKS1_S4_S4_S4_fi.has_recursion, 0
	.set _Z35generalAddBiasResidualPostLayerNormI14__hip_bfloat16Li64EEvPT_PKS1_S4_S4_S4_fi.has_indirect_call, 0
	.section	.AMDGPU.csdata,"",@progbits
; Kernel info:
; codeLenInByte = 2572
; TotalNumSgprs: 20
; NumVgprs: 29
; ScratchSize: 0
; MemoryBound: 0
; FloatMode: 240
; IeeeMode: 1
; LDSByteSize: 72 bytes/workgroup (compile time only)
; SGPRBlocks: 0
; VGPRBlocks: 1
; NumSGPRsForWavesPerEU: 20
; NumVGPRsForWavesPerEU: 29
; NamedBarCnt: 0
; Occupancy: 16
; WaveLimiterHint : 0
; COMPUTE_PGM_RSRC2:SCRATCH_EN: 0
; COMPUTE_PGM_RSRC2:USER_SGPR: 2
; COMPUTE_PGM_RSRC2:TRAP_HANDLER: 0
; COMPUTE_PGM_RSRC2:TGID_X_EN: 1
; COMPUTE_PGM_RSRC2:TGID_Y_EN: 0
; COMPUTE_PGM_RSRC2:TGID_Z_EN: 0
; COMPUTE_PGM_RSRC2:TIDIG_COMP_CNT: 0
	.section	.text._Z28addBiasResidualPostLayerNormI14__hip_bfloat16Li1ELi32EEvPT_PKS1_S4_S4_S4_fi,"axG",@progbits,_Z28addBiasResidualPostLayerNormI14__hip_bfloat16Li1ELi32EEvPT_PKS1_S4_S4_S4_fi,comdat
	.protected	_Z28addBiasResidualPostLayerNormI14__hip_bfloat16Li1ELi32EEvPT_PKS1_S4_S4_S4_fi ; -- Begin function _Z28addBiasResidualPostLayerNormI14__hip_bfloat16Li1ELi32EEvPT_PKS1_S4_S4_S4_fi
	.globl	_Z28addBiasResidualPostLayerNormI14__hip_bfloat16Li1ELi32EEvPT_PKS1_S4_S4_S4_fi
	.p2align	8
	.type	_Z28addBiasResidualPostLayerNormI14__hip_bfloat16Li1ELi32EEvPT_PKS1_S4_S4_S4_fi,@function
_Z28addBiasResidualPostLayerNormI14__hip_bfloat16Li1ELi32EEvPT_PKS1_S4_S4_S4_fi: ; @_Z28addBiasResidualPostLayerNormI14__hip_bfloat16Li1ELi32EEvPT_PKS1_S4_S4_S4_fi
; %bb.0:
	s_clause 0x1
	s_load_b64 s[8:9], s[0:1], 0x28
	s_load_b64 s[6:7], s[0:1], 0x0
	v_mov_b32_e32 v4, 0
	s_getreg_b32 s10, hwreg(HW_REG_IB_STS2, 6, 4)
                                        ; implicit-def: $vgpr1
	s_wait_kmcnt 0x0
	v_cmp_gt_i32_e64 s2, s9, v0
	s_and_saveexec_b32 s3, s2
	s_cbranch_execz .LBB21_2
; %bb.1:
	s_bfe_u32 s4, ttmp6, 0x4000c
	s_load_b128 s[12:15], s[0:1], 0x8
	s_add_co_i32 s4, s4, 1
	s_and_b32 s5, ttmp6, 15
	s_mul_i32 s4, ttmp9, s4
	s_delay_alu instid0(SALU_CYCLE_1) | instskip(SKIP_2) | instid1(SALU_CYCLE_1)
	s_add_co_i32 s5, s5, s4
	s_cmp_eq_u32 s10, 0
	s_cselect_b32 s4, ttmp9, s5
	v_mad_u32 v1, s9, s4, v0
	s_wait_kmcnt 0x0
	s_clause 0x1
	global_load_u16 v2, v1, s[12:13] scale_offset
	global_load_u16 v3, v1, s[6:7] scale_offset
	;; [unrolled: 1-line block ×3, first 2 shown]
	s_wait_loadcnt 0x1
	s_wait_xcnt 0x1
	v_dual_lshlrev_b32 v1, 16, v2 :: v_dual_lshlrev_b32 v2, 16, v3
	s_wait_loadcnt 0x0
	s_delay_alu instid0(VALU_DEP_1) | instskip(NEXT) | instid1(VALU_DEP_1)
	v_dual_add_f32 v1, v2, v1 :: v_dual_lshlrev_b32 v2, 16, v4
	v_cvt_pk_bf16_f32 v1, v1, s0
	s_delay_alu instid0(VALU_DEP_1) | instskip(NEXT) | instid1(VALU_DEP_1)
	v_lshlrev_b32_e32 v1, 16, v1
	v_add_f32_e32 v1, v1, v2
	s_delay_alu instid0(VALU_DEP_1) | instskip(NEXT) | instid1(VALU_DEP_1)
	v_cvt_pk_bf16_f32 v1, v1, s0
	v_lshlrev_b32_e32 v1, 16, v1
	s_delay_alu instid0(VALU_DEP_1)
	v_add_f32_e32 v4, 0, v1
.LBB21_2:
	s_or_b32 exec_lo, exec_lo, s3
	v_mbcnt_lo_u32_b32 v6, -1, 0
	s_delay_alu instid0(VALU_DEP_1) | instskip(SKIP_2) | instid1(VALU_DEP_2)
	v_xor_b32_e32 v3, 8, v6
	v_xor_b32_e32 v2, 16, v6
	;; [unrolled: 1-line block ×3, first 2 shown]
	v_cmp_gt_i32_e32 vcc_lo, 32, v2
	v_cndmask_b32_e32 v2, v6, v2, vcc_lo
	v_cmp_gt_i32_e32 vcc_lo, 32, v3
	v_cndmask_b32_e32 v3, v6, v3, vcc_lo
	s_delay_alu instid0(VALU_DEP_1)
	v_dual_lshlrev_b32 v3, 2, v3 :: v_dual_lshlrev_b32 v2, 2, v2
	ds_bpermute_b32 v5, v2, v4
	s_wait_dscnt 0x0
	v_add_f32_e32 v5, v4, v5
	ds_bpermute_b32 v7, v3, v5
	s_wait_dscnt 0x0
	v_dual_add_f32 v7, v5, v7 :: v_dual_bitop2_b32 v4, 4, v6 bitop3:0x14
	s_delay_alu instid0(VALU_DEP_1) | instskip(SKIP_1) | instid1(VALU_DEP_1)
	v_cmp_gt_i32_e32 vcc_lo, 32, v4
	v_dual_cndmask_b32 v4, v6, v4, vcc_lo :: v_dual_bitop2_b32 v5, 2, v6 bitop3:0x14
	v_cmp_gt_i32_e32 vcc_lo, 32, v5
	s_delay_alu instid0(VALU_DEP_2) | instskip(SKIP_4) | instid1(VALU_DEP_2)
	v_lshlrev_b32_e32 v4, 2, v4
	ds_bpermute_b32 v8, v4, v7
	v_cndmask_b32_e32 v5, v6, v5, vcc_lo
	v_cmp_gt_i32_e32 vcc_lo, 32, v9
	s_wait_dscnt 0x0
	v_dual_add_f32 v7, v7, v8 :: v_dual_lshlrev_b32 v5, 2, v5
	ds_bpermute_b32 v8, v5, v7
	s_wait_dscnt 0x0
	v_dual_cndmask_b32 v6, v6, v9 :: v_dual_add_f32 v9, v7, v8
	s_delay_alu instid0(VALU_DEP_1)
	v_dual_lshlrev_b32 v6, 2, v6 :: v_dual_bitop2_b32 v8, 31, v0 bitop3:0x40
	v_lshrrev_b32_e32 v7, 3, v0
	ds_bpermute_b32 v10, v6, v9
	v_cmp_eq_u32_e64 s3, 0, v8
	s_and_saveexec_b32 s4, s3
	s_cbranch_execz .LBB21_4
; %bb.3:
	s_wait_dscnt 0x0
	v_add_f32_e32 v9, v9, v10
	ds_store_b32 v7, v9
.LBB21_4:
	s_or_b32 exec_lo, exec_lo, s4
	s_wait_dscnt 0x0
	s_barrier_signal -1
	s_barrier_wait -1
	s_load_b32 s4, s[0:1], 0x3c
	v_dual_mov_b32 v9, 0 :: v_dual_lshlrev_b32 v8, 2, v8
	s_wait_kmcnt 0x0
	s_bfe_u32 s4, s4, 0xb0005
	s_delay_alu instid0(SALU_CYCLE_1)
	v_cmp_gt_u32_e64 s4, s4, v0
	s_and_saveexec_b32 s5, s4
; %bb.5:
	ds_load_b32 v9, v8
; %bb.6:
	s_or_b32 exec_lo, exec_lo, s5
	s_wait_dscnt 0x0
	ds_bpermute_b32 v10, v2, v9
	v_cmp_eq_u32_e64 s5, 0, v0
	s_cvt_f32_i32 s11, s9
	s_wait_dscnt 0x0
	v_add_f32_e32 v9, v9, v10
	ds_bpermute_b32 v10, v3, v9
	s_wait_dscnt 0x0
	v_add_f32_e32 v9, v9, v10
	ds_bpermute_b32 v10, v4, v9
	;; [unrolled: 3-line block ×4, first 2 shown]
	s_and_saveexec_b32 s12, s5
	s_cbranch_execz .LBB21_8
; %bb.7:
	s_wait_dscnt 0x0
	v_add_f32_e32 v9, v9, v10
	s_delay_alu instid0(VALU_DEP_1) | instskip(NEXT) | instid1(VALU_DEP_1)
	v_div_scale_f32 v10, null, s11, s11, v9
	v_rcp_f32_e32 v11, v10
	v_nop
	s_delay_alu instid0(TRANS32_DEP_1) | instskip(NEXT) | instid1(VALU_DEP_1)
	v_fma_f32 v12, -v10, v11, 1.0
	v_fmac_f32_e32 v11, v12, v11
	v_div_scale_f32 v13, vcc_lo, v9, s11, v9
	s_delay_alu instid0(VALU_DEP_1) | instskip(NEXT) | instid1(VALU_DEP_1)
	v_mul_f32_e32 v12, v13, v11
	v_fma_f32 v14, -v10, v12, v13
	s_delay_alu instid0(VALU_DEP_1) | instskip(NEXT) | instid1(VALU_DEP_1)
	v_fmac_f32_e32 v12, v14, v11
	v_fma_f32 v10, -v10, v12, v13
	s_delay_alu instid0(VALU_DEP_1) | instskip(NEXT) | instid1(VALU_DEP_1)
	v_div_fmas_f32 v10, v10, v11, v12
	v_div_fixup_f32 v9, v10, s11, v9
	v_mov_b32_e32 v10, 0
	ds_store_b32 v10, v9 offset:132
.LBB21_8:
	s_or_b32 exec_lo, exec_lo, s12
	v_mov_b32_e32 v9, 0
	s_wait_dscnt 0x0
	s_barrier_signal -1
	s_barrier_wait -1
	ds_load_b32 v10, v9 offset:132
	s_wait_dscnt 0x0
	v_sub_f32_e32 v10, v1, v10
	s_delay_alu instid0(VALU_DEP_1) | instskip(NEXT) | instid1(VALU_DEP_1)
	v_mul_f32_e32 v10, v10, v10
	v_cndmask_b32_e64 v10, 0, v10, s2
	ds_bpermute_b32 v11, v2, v10
	s_wait_dscnt 0x0
	v_add_f32_e32 v10, v10, v11
	ds_bpermute_b32 v11, v3, v10
	s_wait_dscnt 0x0
	v_add_f32_e32 v10, v10, v11
	;; [unrolled: 3-line block ×4, first 2 shown]
	ds_bpermute_b32 v11, v6, v10
	s_and_saveexec_b32 s12, s3
	s_cbranch_execz .LBB21_10
; %bb.9:
	s_wait_dscnt 0x0
	v_add_f32_e32 v10, v10, v11
	ds_store_b32 v7, v10
.LBB21_10:
	s_or_b32 exec_lo, exec_lo, s12
	s_wait_dscnt 0x0
	s_barrier_signal -1
	s_barrier_wait -1
	s_and_saveexec_b32 s3, s4
; %bb.11:
	ds_load_b32 v9, v8
; %bb.12:
	s_or_b32 exec_lo, exec_lo, s3
	s_wait_dscnt 0x0
	ds_bpermute_b32 v2, v2, v9
	s_wait_dscnt 0x0
	v_add_f32_e32 v2, v9, v2
	ds_bpermute_b32 v3, v3, v2
	s_wait_dscnt 0x0
	v_add_f32_e32 v2, v2, v3
	;; [unrolled: 3-line block ×4, first 2 shown]
	ds_bpermute_b32 v3, v6, v2
	s_and_saveexec_b32 s3, s5
	s_cbranch_execz .LBB21_14
; %bb.13:
	s_wait_dscnt 0x0
	v_add_f32_e32 v2, v2, v3
	s_delay_alu instid0(VALU_DEP_1) | instskip(NEXT) | instid1(VALU_DEP_1)
	v_div_scale_f32 v3, null, s11, s11, v2
	v_rcp_f32_e32 v4, v3
	v_nop
	s_delay_alu instid0(TRANS32_DEP_1) | instskip(NEXT) | instid1(VALU_DEP_1)
	v_fma_f32 v5, -v3, v4, 1.0
	v_fmac_f32_e32 v4, v5, v4
	v_div_scale_f32 v6, vcc_lo, v2, s11, v2
	s_delay_alu instid0(VALU_DEP_1) | instskip(NEXT) | instid1(VALU_DEP_1)
	v_mul_f32_e32 v5, v6, v4
	v_fma_f32 v7, -v3, v5, v6
	s_delay_alu instid0(VALU_DEP_1) | instskip(NEXT) | instid1(VALU_DEP_1)
	v_fmac_f32_e32 v5, v7, v4
	v_fma_f32 v3, -v3, v5, v6
	s_delay_alu instid0(VALU_DEP_1) | instskip(NEXT) | instid1(VALU_DEP_1)
	v_div_fmas_f32 v3, v3, v4, v5
	v_div_fixup_f32 v2, v3, s11, v2
	s_delay_alu instid0(VALU_DEP_1)
	v_dual_mov_b32 v3, 0 :: v_dual_add_f32 v2, s8, v2
	ds_store_b32 v3, v2 offset:128
.LBB21_14:
	s_or_b32 exec_lo, exec_lo, s3
	s_wait_dscnt 0x0
	s_barrier_signal -1
	s_barrier_wait -1
	s_and_saveexec_b32 s3, s2
	s_cbranch_execz .LBB21_16
; %bb.15:
	s_load_b128 s[12:15], s[0:1], 0x18
	v_mov_b32_e32 v2, 0
	s_wait_kmcnt 0x0
	s_clause 0x1
	global_load_u16 v4, v0, s[12:13] scale_offset
	global_load_u16 v5, v0, s[14:15] scale_offset
	ds_load_b64 v[2:3], v2 offset:128
	s_wait_dscnt 0x0
	v_readfirstlane_b32 s0, v2
	v_sub_f32_e32 v1, v1, v3
	s_cmp_lt_f32 s0, 0x800000
	s_mul_f32 s1, s0, 0x4b800000
	s_delay_alu instid0(SALU_CYCLE_3) | instskip(NEXT) | instid1(SALU_CYCLE_1)
	s_cselect_b32 s0, s1, s0
	v_s_rsq_f32 s0, s0
	s_delay_alu instid0(TRANS32_DEP_1) | instskip(NEXT) | instid1(SALU_CYCLE_3)
	s_mul_f32 s1, s0, 0x45800000
	s_cselect_b32 s0, s1, s0
	s_bfe_u32 s1, ttmp6, 0x4000c
	s_and_b32 s2, ttmp6, 15
	s_add_co_i32 s1, s1, 1
	v_nop
	v_mul_f32_e32 v1, s0, v1
	s_mul_i32 s1, ttmp9, s1
	s_delay_alu instid0(SALU_CYCLE_1)
	s_add_co_i32 s2, s2, s1
	s_cmp_eq_u32 s10, 0
	s_cselect_b32 s1, ttmp9, s2
	s_wait_xcnt 0x0
	v_mad_u32 v0, s9, s1, v0
	s_wait_loadcnt 0x0
	v_fma_mixlo_bf16 v1, v1, v4, v5 op_sel_hi:[0,1,1]
	global_store_b16 v0, v1, s[6:7] scale_offset
.LBB21_16:
	s_endpgm
	.section	.rodata,"a",@progbits
	.p2align	6, 0x0
	.amdhsa_kernel _Z28addBiasResidualPostLayerNormI14__hip_bfloat16Li1ELi32EEvPT_PKS1_S4_S4_S4_fi
		.amdhsa_group_segment_fixed_size 136
		.amdhsa_private_segment_fixed_size 0
		.amdhsa_kernarg_size 304
		.amdhsa_user_sgpr_count 2
		.amdhsa_user_sgpr_dispatch_ptr 0
		.amdhsa_user_sgpr_queue_ptr 0
		.amdhsa_user_sgpr_kernarg_segment_ptr 1
		.amdhsa_user_sgpr_dispatch_id 0
		.amdhsa_user_sgpr_kernarg_preload_length 0
		.amdhsa_user_sgpr_kernarg_preload_offset 0
		.amdhsa_user_sgpr_private_segment_size 0
		.amdhsa_wavefront_size32 1
		.amdhsa_uses_dynamic_stack 0
		.amdhsa_enable_private_segment 0
		.amdhsa_system_sgpr_workgroup_id_x 1
		.amdhsa_system_sgpr_workgroup_id_y 0
		.amdhsa_system_sgpr_workgroup_id_z 0
		.amdhsa_system_sgpr_workgroup_info 0
		.amdhsa_system_vgpr_workitem_id 0
		.amdhsa_next_free_vgpr 15
		.amdhsa_next_free_sgpr 16
		.amdhsa_named_barrier_count 0
		.amdhsa_reserve_vcc 1
		.amdhsa_float_round_mode_32 0
		.amdhsa_float_round_mode_16_64 0
		.amdhsa_float_denorm_mode_32 3
		.amdhsa_float_denorm_mode_16_64 3
		.amdhsa_fp16_overflow 0
		.amdhsa_memory_ordered 1
		.amdhsa_forward_progress 1
		.amdhsa_inst_pref_size 11
		.amdhsa_round_robin_scheduling 0
		.amdhsa_exception_fp_ieee_invalid_op 0
		.amdhsa_exception_fp_denorm_src 0
		.amdhsa_exception_fp_ieee_div_zero 0
		.amdhsa_exception_fp_ieee_overflow 0
		.amdhsa_exception_fp_ieee_underflow 0
		.amdhsa_exception_fp_ieee_inexact 0
		.amdhsa_exception_int_div_zero 0
	.end_amdhsa_kernel
	.section	.text._Z28addBiasResidualPostLayerNormI14__hip_bfloat16Li1ELi32EEvPT_PKS1_S4_S4_S4_fi,"axG",@progbits,_Z28addBiasResidualPostLayerNormI14__hip_bfloat16Li1ELi32EEvPT_PKS1_S4_S4_S4_fi,comdat
.Lfunc_end21:
	.size	_Z28addBiasResidualPostLayerNormI14__hip_bfloat16Li1ELi32EEvPT_PKS1_S4_S4_S4_fi, .Lfunc_end21-_Z28addBiasResidualPostLayerNormI14__hip_bfloat16Li1ELi32EEvPT_PKS1_S4_S4_S4_fi
                                        ; -- End function
	.set _Z28addBiasResidualPostLayerNormI14__hip_bfloat16Li1ELi32EEvPT_PKS1_S4_S4_S4_fi.num_vgpr, 15
	.set _Z28addBiasResidualPostLayerNormI14__hip_bfloat16Li1ELi32EEvPT_PKS1_S4_S4_S4_fi.num_agpr, 0
	.set _Z28addBiasResidualPostLayerNormI14__hip_bfloat16Li1ELi32EEvPT_PKS1_S4_S4_S4_fi.numbered_sgpr, 16
	.set _Z28addBiasResidualPostLayerNormI14__hip_bfloat16Li1ELi32EEvPT_PKS1_S4_S4_S4_fi.num_named_barrier, 0
	.set _Z28addBiasResidualPostLayerNormI14__hip_bfloat16Li1ELi32EEvPT_PKS1_S4_S4_S4_fi.private_seg_size, 0
	.set _Z28addBiasResidualPostLayerNormI14__hip_bfloat16Li1ELi32EEvPT_PKS1_S4_S4_S4_fi.uses_vcc, 1
	.set _Z28addBiasResidualPostLayerNormI14__hip_bfloat16Li1ELi32EEvPT_PKS1_S4_S4_S4_fi.uses_flat_scratch, 0
	.set _Z28addBiasResidualPostLayerNormI14__hip_bfloat16Li1ELi32EEvPT_PKS1_S4_S4_S4_fi.has_dyn_sized_stack, 0
	.set _Z28addBiasResidualPostLayerNormI14__hip_bfloat16Li1ELi32EEvPT_PKS1_S4_S4_S4_fi.has_recursion, 0
	.set _Z28addBiasResidualPostLayerNormI14__hip_bfloat16Li1ELi32EEvPT_PKS1_S4_S4_S4_fi.has_indirect_call, 0
	.section	.AMDGPU.csdata,"",@progbits
; Kernel info:
; codeLenInByte = 1360
; TotalNumSgprs: 18
; NumVgprs: 15
; ScratchSize: 0
; MemoryBound: 0
; FloatMode: 240
; IeeeMode: 1
; LDSByteSize: 136 bytes/workgroup (compile time only)
; SGPRBlocks: 0
; VGPRBlocks: 0
; NumSGPRsForWavesPerEU: 18
; NumVGPRsForWavesPerEU: 15
; NamedBarCnt: 0
; Occupancy: 16
; WaveLimiterHint : 0
; COMPUTE_PGM_RSRC2:SCRATCH_EN: 0
; COMPUTE_PGM_RSRC2:USER_SGPR: 2
; COMPUTE_PGM_RSRC2:TRAP_HANDLER: 0
; COMPUTE_PGM_RSRC2:TGID_X_EN: 1
; COMPUTE_PGM_RSRC2:TGID_Y_EN: 0
; COMPUTE_PGM_RSRC2:TGID_Z_EN: 0
; COMPUTE_PGM_RSRC2:TIDIG_COMP_CNT: 0
	.section	.text._Z28addBiasResidualPostLayerNormI14__hip_bfloat16Li2ELi32EEvPT_PKS1_S4_S4_S4_fi,"axG",@progbits,_Z28addBiasResidualPostLayerNormI14__hip_bfloat16Li2ELi32EEvPT_PKS1_S4_S4_S4_fi,comdat
	.protected	_Z28addBiasResidualPostLayerNormI14__hip_bfloat16Li2ELi32EEvPT_PKS1_S4_S4_S4_fi ; -- Begin function _Z28addBiasResidualPostLayerNormI14__hip_bfloat16Li2ELi32EEvPT_PKS1_S4_S4_S4_fi
	.globl	_Z28addBiasResidualPostLayerNormI14__hip_bfloat16Li2ELi32EEvPT_PKS1_S4_S4_S4_fi
	.p2align	8
	.type	_Z28addBiasResidualPostLayerNormI14__hip_bfloat16Li2ELi32EEvPT_PKS1_S4_S4_S4_fi,@function
_Z28addBiasResidualPostLayerNormI14__hip_bfloat16Li2ELi32EEvPT_PKS1_S4_S4_S4_fi: ; @_Z28addBiasResidualPostLayerNormI14__hip_bfloat16Li2ELi32EEvPT_PKS1_S4_S4_S4_fi
; %bb.0:
	s_clause 0x1
	s_load_b64 s[10:11], s[0:1], 0x28
	s_load_b64 s[8:9], s[0:1], 0x0
	v_dual_mov_b32 v5, 0 :: v_dual_mov_b32 v4, 0
	v_mov_b32_e32 v3, 0
	s_getreg_b32 s14, hwreg(HW_REG_IB_STS2, 6, 4)
	s_wait_kmcnt 0x0
	v_cmp_gt_i32_e64 s2, s11, v0
	s_and_saveexec_b32 s3, s2
	s_cbranch_execz .LBB22_4
; %bb.1:
	s_load_b128 s[4:7], s[0:1], 0x8
	s_bfe_u32 s12, ttmp6, 0x4000c
	s_and_b32 s13, ttmp6, 15
	s_add_co_i32 s12, s12, 1
	s_mov_b32 s15, exec_lo
	s_mul_i32 s12, ttmp9, s12
	s_delay_alu instid0(SALU_CYCLE_1) | instskip(SKIP_4) | instid1(SALU_CYCLE_1)
	s_add_co_i32 s13, s13, s12
	s_cmp_eq_u32 s14, 0
	s_cselect_b32 s12, ttmp9, s13
	s_load_b32 s13, s[0:1], 0x3c
	s_mul_i32 s12, s11, s12
	v_add_nc_u32_e32 v1, s12, v0
	global_load_u16 v2, v1, s[8:9] scale_offset
	s_wait_kmcnt 0x0
	global_load_u16 v3, v1, s[4:5] scale_offset
	global_load_u16 v4, v0, s[6:7] scale_offset
	s_and_b32 s16, s13, 0xffff
	s_mov_b32 s13, 0
	s_wait_loadcnt 0x1
	s_wait_xcnt 0x1
	v_dual_lshlrev_b32 v1, 16, v2 :: v_dual_lshlrev_b32 v2, 16, v3
	s_delay_alu instid0(VALU_DEP_1) | instskip(SKIP_2) | instid1(VALU_DEP_2)
	v_dual_mov_b32 v3, 0 :: v_dual_add_f32 v1, v1, v2
	s_wait_loadcnt 0x0
	v_lshlrev_b32_e32 v2, 16, v4
	v_cvt_pk_bf16_f32 v1, v1, s0
	s_delay_alu instid0(VALU_DEP_1) | instskip(NEXT) | instid1(VALU_DEP_1)
	v_lshlrev_b32_e32 v1, 16, v1
	v_add_f32_e32 v1, v1, v2
	s_delay_alu instid0(VALU_DEP_1) | instskip(NEXT) | instid1(VALU_DEP_1)
	v_cvt_pk_bf16_f32 v1, v1, s0
	v_dual_lshlrev_b32 v4, 16, v1 :: v_dual_add_nc_u32 v1, s16, v0
	s_delay_alu instid0(VALU_DEP_1) | instskip(NEXT) | instid1(VALU_DEP_2)
	v_add_f32_e32 v5, 0, v4
	v_cmpx_gt_u32_e64 s11, v1
	s_cbranch_execz .LBB22_3
; %bb.2:
	v_dual_add_nc_u32 v1, s12, v1 :: v_dual_lshlrev_b32 v2, 1, v0
	s_lshl_b32 s12, s16, 1
	s_clause 0x1
	global_load_u16 v6, v1, s[4:5] scale_offset
	global_load_u16 v7, v1, s[8:9] scale_offset
	v_add_nc_u64_e32 v[2:3], s[6:7], v[2:3]
	s_delay_alu instid0(VALU_DEP_1)
	v_add_nc_u64_e32 v[2:3], s[12:13], v[2:3]
	global_load_u16 v1, v[2:3], off
	s_wait_loadcnt 0x1
	s_wait_xcnt 0x0
	v_dual_lshlrev_b32 v2, 16, v6 :: v_dual_lshlrev_b32 v3, 16, v7
	s_wait_loadcnt 0x0
	s_delay_alu instid0(VALU_DEP_1) | instskip(NEXT) | instid1(VALU_DEP_1)
	v_dual_add_f32 v2, v3, v2 :: v_dual_lshlrev_b32 v1, 16, v1
	v_cvt_pk_bf16_f32 v2, v2, s0
	s_delay_alu instid0(VALU_DEP_1) | instskip(NEXT) | instid1(VALU_DEP_1)
	v_lshlrev_b32_e32 v2, 16, v2
	v_add_f32_e32 v1, v2, v1
	s_delay_alu instid0(VALU_DEP_1) | instskip(NEXT) | instid1(VALU_DEP_1)
	v_cvt_pk_bf16_f32 v1, v1, s0
	v_lshlrev_b32_e32 v3, 16, v1
	s_delay_alu instid0(VALU_DEP_1)
	v_add_f32_e32 v5, v5, v3
.LBB22_3:
	s_or_b32 exec_lo, exec_lo, s15
.LBB22_4:
	s_delay_alu instid0(SALU_CYCLE_1) | instskip(SKIP_1) | instid1(VALU_DEP_1)
	s_or_b32 exec_lo, exec_lo, s3
	v_mbcnt_lo_u32_b32 v2, -1, 0
	v_xor_b32_e32 v1, 16, v2
	v_xor_b32_e32 v6, 8, v2
	v_xor_b32_e32 v10, 1, v2
	s_delay_alu instid0(VALU_DEP_3) | instskip(SKIP_1) | instid1(VALU_DEP_4)
	v_cmp_gt_i32_e32 vcc_lo, 32, v1
	v_cndmask_b32_e32 v1, v2, v1, vcc_lo
	v_cmp_gt_i32_e32 vcc_lo, 32, v6
	s_delay_alu instid0(VALU_DEP_2) | instskip(SKIP_3) | instid1(VALU_DEP_1)
	v_dual_cndmask_b32 v6, v2, v6 :: v_dual_lshlrev_b32 v1, 2, v1
	ds_bpermute_b32 v7, v1, v5
	s_wait_dscnt 0x0
	v_dual_add_f32 v5, v5, v7 :: v_dual_bitop2_b32 v7, 4, v2 bitop3:0x14
	v_cmp_gt_i32_e32 vcc_lo, 32, v7
	v_dual_cndmask_b32 v7, v2, v7 :: v_dual_lshlrev_b32 v6, 2, v6
	ds_bpermute_b32 v8, v6, v5
	s_wait_dscnt 0x0
	v_dual_lshlrev_b32 v7, 2, v7 :: v_dual_add_f32 v5, v5, v8
	v_xor_b32_e32 v8, 2, v2
	ds_bpermute_b32 v9, v7, v5
	v_cmp_gt_i32_e32 vcc_lo, 32, v8
	v_cndmask_b32_e32 v8, v2, v8, vcc_lo
	v_cmp_gt_i32_e32 vcc_lo, 32, v10
	s_wait_dscnt 0x0
	s_delay_alu instid0(VALU_DEP_2) | instskip(SKIP_3) | instid1(VALU_DEP_1)
	v_dual_add_f32 v5, v5, v9 :: v_dual_lshlrev_b32 v8, 2, v8
	ds_bpermute_b32 v9, v8, v5
	v_dual_cndmask_b32 v2, v2, v10, vcc_lo :: v_dual_lshrrev_b32 v10, 3, v0
	s_wait_dscnt 0x0
	v_dual_add_f32 v5, v5, v9 :: v_dual_lshlrev_b32 v9, 2, v2
	v_and_b32_e32 v2, 31, v0
	ds_bpermute_b32 v11, v9, v5
	v_cmp_eq_u32_e64 s3, 0, v2
	s_and_saveexec_b32 s4, s3
	s_cbranch_execz .LBB22_6
; %bb.5:
	s_wait_dscnt 0x0
	v_add_f32_e32 v5, v5, v11
	ds_store_b32 v10, v5
.LBB22_6:
	s_or_b32 exec_lo, exec_lo, s4
	s_wait_dscnt 0x0
	s_barrier_signal -1
	s_barrier_wait -1
	s_load_b32 s7, s[0:1], 0x3c
	v_dual_mov_b32 v5, 0 :: v_dual_lshlrev_b32 v11, 2, v2
	s_wait_kmcnt 0x0
	s_bfe_u32 s4, s7, 0xb0005
	s_delay_alu instid0(SALU_CYCLE_1)
	v_cmp_gt_u32_e64 s4, s4, v0
	s_and_saveexec_b32 s5, s4
; %bb.7:
	ds_load_b32 v5, v11
; %bb.8:
	s_or_b32 exec_lo, exec_lo, s5
	s_wait_dscnt 0x0
	ds_bpermute_b32 v2, v1, v5
	v_cmp_eq_u32_e64 s5, 0, v0
	s_cvt_f32_i32 s6, s11
	s_wait_dscnt 0x0
	v_add_f32_e32 v2, v5, v2
	ds_bpermute_b32 v5, v6, v2
	s_wait_dscnt 0x0
	v_add_f32_e32 v2, v2, v5
	ds_bpermute_b32 v5, v7, v2
	;; [unrolled: 3-line block ×4, first 2 shown]
	s_and_saveexec_b32 s12, s5
	s_cbranch_execz .LBB22_10
; %bb.9:
	s_wait_dscnt 0x0
	v_add_f32_e32 v2, v2, v5
	s_delay_alu instid0(VALU_DEP_1) | instskip(NEXT) | instid1(VALU_DEP_1)
	v_div_scale_f32 v5, null, s6, s6, v2
	v_rcp_f32_e32 v12, v5
	v_nop
	s_delay_alu instid0(TRANS32_DEP_1) | instskip(NEXT) | instid1(VALU_DEP_1)
	v_fma_f32 v13, -v5, v12, 1.0
	v_fmac_f32_e32 v12, v13, v12
	v_div_scale_f32 v14, vcc_lo, v2, s6, v2
	s_delay_alu instid0(VALU_DEP_1) | instskip(NEXT) | instid1(VALU_DEP_1)
	v_mul_f32_e32 v13, v14, v12
	v_fma_f32 v15, -v5, v13, v14
	s_delay_alu instid0(VALU_DEP_1) | instskip(NEXT) | instid1(VALU_DEP_1)
	v_fmac_f32_e32 v13, v15, v12
	v_fma_f32 v5, -v5, v13, v14
	s_delay_alu instid0(VALU_DEP_1) | instskip(NEXT) | instid1(VALU_DEP_1)
	v_div_fmas_f32 v5, v5, v12, v13
	v_div_fixup_f32 v2, v5, s6, v2
	v_mov_b32_e32 v5, 0
	ds_store_b32 v5, v2 offset:132
.LBB22_10:
	s_or_b32 exec_lo, exec_lo, s12
	s_and_b32 s12, 0xffff, s7
	s_wait_dscnt 0x0
	v_dual_mov_b32 v5, 0 :: v_dual_add_nc_u32 v2, s12, v0
	s_barrier_signal -1
	s_barrier_wait -1
	s_and_saveexec_b32 s7, s2
	s_cbranch_execz .LBB22_12
; %bb.11:
	v_mov_b32_e32 v5, 0
	v_cmp_gt_u32_e32 vcc_lo, s11, v2
	ds_load_b32 v12, v5 offset:132
	v_mov_b32_e32 v5, v3
	s_wait_dscnt 0x0
	s_delay_alu instid0(VALU_DEP_1) | instskip(NEXT) | instid1(VALU_DEP_1)
	v_pk_add_f32 v[12:13], v[4:5], v[12:13] op_sel_hi:[1,0] neg_lo:[0,1] neg_hi:[0,1]
	v_pk_mul_f32 v[12:13], v[12:13], v[12:13]
	s_delay_alu instid0(VALU_DEP_1) | instskip(NEXT) | instid1(VALU_DEP_1)
	v_add_f32_e32 v5, v12, v13
	v_cndmask_b32_e32 v5, v12, v5, vcc_lo
.LBB22_12:
	s_or_b32 exec_lo, exec_lo, s7
	ds_bpermute_b32 v12, v1, v5
	s_wait_dscnt 0x0
	v_add_f32_e32 v5, v5, v12
	ds_bpermute_b32 v12, v6, v5
	s_wait_dscnt 0x0
	v_add_f32_e32 v5, v5, v12
	;; [unrolled: 3-line block ×4, first 2 shown]
	ds_bpermute_b32 v12, v9, v5
	s_and_saveexec_b32 s7, s3
	s_cbranch_execz .LBB22_14
; %bb.13:
	s_wait_dscnt 0x0
	v_add_f32_e32 v5, v5, v12
	ds_store_b32 v10, v5
.LBB22_14:
	s_or_b32 exec_lo, exec_lo, s7
	v_mov_b32_e32 v5, 0
	s_wait_dscnt 0x0
	s_barrier_signal -1
	s_barrier_wait -1
	s_and_saveexec_b32 s3, s4
; %bb.15:
	ds_load_b32 v5, v11
; %bb.16:
	s_or_b32 exec_lo, exec_lo, s3
	s_wait_dscnt 0x0
	ds_bpermute_b32 v1, v1, v5
	s_wait_dscnt 0x0
	v_add_f32_e32 v1, v5, v1
	ds_bpermute_b32 v5, v6, v1
	s_wait_dscnt 0x0
	v_add_f32_e32 v1, v1, v5
	;; [unrolled: 3-line block ×4, first 2 shown]
	ds_bpermute_b32 v5, v9, v1
	s_and_saveexec_b32 s3, s5
	s_cbranch_execz .LBB22_18
; %bb.17:
	s_wait_dscnt 0x0
	v_add_f32_e32 v1, v1, v5
	s_delay_alu instid0(VALU_DEP_1) | instskip(NEXT) | instid1(VALU_DEP_1)
	v_div_scale_f32 v5, null, s6, s6, v1
	v_rcp_f32_e32 v6, v5
	v_nop
	s_delay_alu instid0(TRANS32_DEP_1) | instskip(NEXT) | instid1(VALU_DEP_1)
	v_fma_f32 v7, -v5, v6, 1.0
	v_fmac_f32_e32 v6, v7, v6
	v_div_scale_f32 v8, vcc_lo, v1, s6, v1
	s_delay_alu instid0(VALU_DEP_1) | instskip(NEXT) | instid1(VALU_DEP_1)
	v_mul_f32_e32 v7, v8, v6
	v_fma_f32 v9, -v5, v7, v8
	s_delay_alu instid0(VALU_DEP_1) | instskip(NEXT) | instid1(VALU_DEP_1)
	v_fmac_f32_e32 v7, v9, v6
	v_fma_f32 v5, -v5, v7, v8
	s_delay_alu instid0(VALU_DEP_1) | instskip(NEXT) | instid1(VALU_DEP_1)
	v_div_fmas_f32 v5, v5, v6, v7
	v_div_fixup_f32 v1, v5, s6, v1
	s_delay_alu instid0(VALU_DEP_1)
	v_dual_mov_b32 v5, 0 :: v_dual_add_f32 v1, s10, v1
	ds_store_b32 v5, v1 offset:128
.LBB22_18:
	s_or_b32 exec_lo, exec_lo, s3
	s_wait_dscnt 0x0
	s_barrier_signal -1
	s_barrier_wait -1
	s_and_saveexec_b32 s3, s2
	s_cbranch_execz .LBB22_21
; %bb.19:
	s_load_b128 s[4:7], s[0:1], 0x18
	v_mov_b32_e32 v1, 0
	v_cmp_gt_u32_e32 vcc_lo, s11, v2
	s_wait_kmcnt 0x0
	s_clause 0x1
	global_load_u16 v5, v0, s[4:5] scale_offset
	global_load_u16 v8, v0, s[6:7] scale_offset
	ds_load_b64 v[6:7], v1 offset:128
	s_wait_dscnt 0x0
	v_readfirstlane_b32 s0, v6
	v_sub_f32_e32 v4, v4, v7
	s_cmp_lt_f32 s0, 0x800000
	s_mul_f32 s1, s0, 0x4b800000
	s_delay_alu instid0(SALU_CYCLE_3) | instskip(NEXT) | instid1(SALU_CYCLE_1)
	s_cselect_b32 s0, s1, s0
	v_s_rsq_f32 s0, s0
	s_delay_alu instid0(TRANS32_DEP_1) | instskip(NEXT) | instid1(SALU_CYCLE_3)
	s_mul_f32 s1, s0, 0x45800000
	s_cselect_b32 s2, s1, s0
	s_bfe_u32 s0, ttmp6, 0x4000c
	s_and_b32 s1, ttmp6, 15
	s_add_co_i32 s0, s0, 1
	v_mul_f32_e32 v4, s2, v4
	s_mul_i32 s0, ttmp9, s0
	s_delay_alu instid0(SALU_CYCLE_1)
	s_add_co_i32 s1, s1, s0
	s_cmp_eq_u32 s14, 0
	s_cselect_b32 s0, ttmp9, s1
	s_mov_b32 s1, 0
	s_mul_i32 s3, s11, s0
	s_wait_loadcnt 0x0
	v_fma_mixlo_bf16 v4, v4, v5, v8 op_sel_hi:[0,1,1]
	v_add_nc_u32_e32 v5, s3, v0
	global_store_b16 v5, v4, s[8:9] scale_offset
	s_wait_xcnt 0x0
	s_and_b32 exec_lo, exec_lo, vcc_lo
	s_cbranch_execz .LBB22_21
; %bb.20:
	v_lshlrev_b32_e32 v0, 1, v0
	s_lshl_b32 s0, s12, 1
	s_delay_alu instid0(VALU_DEP_1) | instskip(SKIP_1) | instid1(VALU_DEP_2)
	v_add_nc_u64_e32 v[4:5], s[4:5], v[0:1]
	v_add_nc_u64_e32 v[0:1], s[6:7], v[0:1]
	;; [unrolled: 1-line block ×3, first 2 shown]
	s_delay_alu instid0(VALU_DEP_2) | instskip(SKIP_4) | instid1(VALU_DEP_1)
	v_add_nc_u64_e32 v[0:1], s[0:1], v[0:1]
	global_load_u16 v6, v[4:5], off
	global_load_u16 v8, v[0:1], off
	s_wait_xcnt 0x0
	v_dual_sub_f32 v0, v3, v7 :: v_dual_add_nc_u32 v1, s3, v2
	v_mul_f32_e32 v0, s2, v0
	s_wait_loadcnt 0x0
	s_delay_alu instid0(VALU_DEP_1)
	v_fma_mixlo_bf16 v0, v0, v6, v8 op_sel_hi:[0,1,1]
	global_store_b16 v1, v0, s[8:9] scale_offset
.LBB22_21:
	s_endpgm
	.section	.rodata,"a",@progbits
	.p2align	6, 0x0
	.amdhsa_kernel _Z28addBiasResidualPostLayerNormI14__hip_bfloat16Li2ELi32EEvPT_PKS1_S4_S4_S4_fi
		.amdhsa_group_segment_fixed_size 136
		.amdhsa_private_segment_fixed_size 0
		.amdhsa_kernarg_size 304
		.amdhsa_user_sgpr_count 2
		.amdhsa_user_sgpr_dispatch_ptr 0
		.amdhsa_user_sgpr_queue_ptr 0
		.amdhsa_user_sgpr_kernarg_segment_ptr 1
		.amdhsa_user_sgpr_dispatch_id 0
		.amdhsa_user_sgpr_kernarg_preload_length 0
		.amdhsa_user_sgpr_kernarg_preload_offset 0
		.amdhsa_user_sgpr_private_segment_size 0
		.amdhsa_wavefront_size32 1
		.amdhsa_uses_dynamic_stack 0
		.amdhsa_enable_private_segment 0
		.amdhsa_system_sgpr_workgroup_id_x 1
		.amdhsa_system_sgpr_workgroup_id_y 0
		.amdhsa_system_sgpr_workgroup_id_z 0
		.amdhsa_system_sgpr_workgroup_info 0
		.amdhsa_system_vgpr_workitem_id 0
		.amdhsa_next_free_vgpr 16
		.amdhsa_next_free_sgpr 17
		.amdhsa_named_barrier_count 0
		.amdhsa_reserve_vcc 1
		.amdhsa_float_round_mode_32 0
		.amdhsa_float_round_mode_16_64 0
		.amdhsa_float_denorm_mode_32 3
		.amdhsa_float_denorm_mode_16_64 3
		.amdhsa_fp16_overflow 0
		.amdhsa_memory_ordered 1
		.amdhsa_forward_progress 1
		.amdhsa_inst_pref_size 14
		.amdhsa_round_robin_scheduling 0
		.amdhsa_exception_fp_ieee_invalid_op 0
		.amdhsa_exception_fp_denorm_src 0
		.amdhsa_exception_fp_ieee_div_zero 0
		.amdhsa_exception_fp_ieee_overflow 0
		.amdhsa_exception_fp_ieee_underflow 0
		.amdhsa_exception_fp_ieee_inexact 0
		.amdhsa_exception_int_div_zero 0
	.end_amdhsa_kernel
	.section	.text._Z28addBiasResidualPostLayerNormI14__hip_bfloat16Li2ELi32EEvPT_PKS1_S4_S4_S4_fi,"axG",@progbits,_Z28addBiasResidualPostLayerNormI14__hip_bfloat16Li2ELi32EEvPT_PKS1_S4_S4_S4_fi,comdat
.Lfunc_end22:
	.size	_Z28addBiasResidualPostLayerNormI14__hip_bfloat16Li2ELi32EEvPT_PKS1_S4_S4_S4_fi, .Lfunc_end22-_Z28addBiasResidualPostLayerNormI14__hip_bfloat16Li2ELi32EEvPT_PKS1_S4_S4_S4_fi
                                        ; -- End function
	.set _Z28addBiasResidualPostLayerNormI14__hip_bfloat16Li2ELi32EEvPT_PKS1_S4_S4_S4_fi.num_vgpr, 16
	.set _Z28addBiasResidualPostLayerNormI14__hip_bfloat16Li2ELi32EEvPT_PKS1_S4_S4_S4_fi.num_agpr, 0
	.set _Z28addBiasResidualPostLayerNormI14__hip_bfloat16Li2ELi32EEvPT_PKS1_S4_S4_S4_fi.numbered_sgpr, 17
	.set _Z28addBiasResidualPostLayerNormI14__hip_bfloat16Li2ELi32EEvPT_PKS1_S4_S4_S4_fi.num_named_barrier, 0
	.set _Z28addBiasResidualPostLayerNormI14__hip_bfloat16Li2ELi32EEvPT_PKS1_S4_S4_S4_fi.private_seg_size, 0
	.set _Z28addBiasResidualPostLayerNormI14__hip_bfloat16Li2ELi32EEvPT_PKS1_S4_S4_S4_fi.uses_vcc, 1
	.set _Z28addBiasResidualPostLayerNormI14__hip_bfloat16Li2ELi32EEvPT_PKS1_S4_S4_S4_fi.uses_flat_scratch, 0
	.set _Z28addBiasResidualPostLayerNormI14__hip_bfloat16Li2ELi32EEvPT_PKS1_S4_S4_S4_fi.has_dyn_sized_stack, 0
	.set _Z28addBiasResidualPostLayerNormI14__hip_bfloat16Li2ELi32EEvPT_PKS1_S4_S4_S4_fi.has_recursion, 0
	.set _Z28addBiasResidualPostLayerNormI14__hip_bfloat16Li2ELi32EEvPT_PKS1_S4_S4_S4_fi.has_indirect_call, 0
	.section	.AMDGPU.csdata,"",@progbits
; Kernel info:
; codeLenInByte = 1732
; TotalNumSgprs: 19
; NumVgprs: 16
; ScratchSize: 0
; MemoryBound: 0
; FloatMode: 240
; IeeeMode: 1
; LDSByteSize: 136 bytes/workgroup (compile time only)
; SGPRBlocks: 0
; VGPRBlocks: 0
; NumSGPRsForWavesPerEU: 19
; NumVGPRsForWavesPerEU: 16
; NamedBarCnt: 0
; Occupancy: 16
; WaveLimiterHint : 0
; COMPUTE_PGM_RSRC2:SCRATCH_EN: 0
; COMPUTE_PGM_RSRC2:USER_SGPR: 2
; COMPUTE_PGM_RSRC2:TRAP_HANDLER: 0
; COMPUTE_PGM_RSRC2:TGID_X_EN: 1
; COMPUTE_PGM_RSRC2:TGID_Y_EN: 0
; COMPUTE_PGM_RSRC2:TGID_Z_EN: 0
; COMPUTE_PGM_RSRC2:TIDIG_COMP_CNT: 0
	.section	.text._Z35generalAddBiasResidualPostLayerNormI14__hip_bfloat16Li32EEvPT_PKS1_S4_S4_S4_fi,"axG",@progbits,_Z35generalAddBiasResidualPostLayerNormI14__hip_bfloat16Li32EEvPT_PKS1_S4_S4_S4_fi,comdat
	.protected	_Z35generalAddBiasResidualPostLayerNormI14__hip_bfloat16Li32EEvPT_PKS1_S4_S4_S4_fi ; -- Begin function _Z35generalAddBiasResidualPostLayerNormI14__hip_bfloat16Li32EEvPT_PKS1_S4_S4_S4_fi
	.globl	_Z35generalAddBiasResidualPostLayerNormI14__hip_bfloat16Li32EEvPT_PKS1_S4_S4_S4_fi
	.p2align	8
	.type	_Z35generalAddBiasResidualPostLayerNormI14__hip_bfloat16Li32EEvPT_PKS1_S4_S4_S4_fi,@function
_Z35generalAddBiasResidualPostLayerNormI14__hip_bfloat16Li32EEvPT_PKS1_S4_S4_S4_fi: ; @_Z35generalAddBiasResidualPostLayerNormI14__hip_bfloat16Li32EEvPT_PKS1_S4_S4_S4_fi
; %bb.0:
	s_clause 0x1
	s_load_b64 s[10:11], s[0:1], 0x28
	s_load_b64 s[8:9], s[0:1], 0x0
	v_mov_b32_e32 v3, 0
	s_getreg_b32 s15, hwreg(HW_REG_IB_STS2, 6, 4)
	s_wait_kmcnt 0x0
	s_lshr_b32 s2, s11, 31
	s_delay_alu instid0(SALU_CYCLE_1) | instskip(NEXT) | instid1(SALU_CYCLE_1)
	s_add_co_i32 s2, s11, s2
	s_ashr_i32 s14, s2, 1
	s_delay_alu instid0(SALU_CYCLE_1)
	v_cmp_gt_i32_e64 s2, s14, v0
	s_and_saveexec_b32 s3, s2
	s_cbranch_execz .LBB23_4
; %bb.1:
	s_clause 0x1
	s_load_b128 s[4:7], s[0:1], 0x8
	s_load_b32 s12, s[0:1], 0x3c
	s_bfe_u32 s13, ttmp6, 0x4000c
	v_dual_mov_b32 v3, 0 :: v_dual_lshlrev_b32 v2, 2, v0
	s_add_co_i32 s13, s13, 1
	s_and_b32 s16, ttmp6, 15
	s_mul_i32 s13, ttmp9, s13
	v_mov_b32_e32 v1, v0
	s_add_co_i32 s16, s16, s13
	s_cmp_eq_u32 s15, 0
	s_mov_b32 s13, 0
	s_cselect_b32 s16, ttmp9, s16
	s_delay_alu instid0(SALU_CYCLE_1)
	s_mul_i32 s16, s11, s16
	s_wait_kmcnt 0x0
	v_add_nc_u64_e32 v[4:5], s[6:7], v[2:3]
	s_and_b32 s6, s12, 0xffff
	s_lshr_b32 s7, s16, 1
	s_lshl_b32 s12, s6, 2
	s_mov_b32 s16, s13
.LBB23_2:                               ; =>This Inner Loop Header: Depth=1
	v_add_nc_u32_e32 v2, s7, v1
	s_clause 0x1
	global_load_b32 v6, v2, s[8:9] scale_offset
	global_load_b32 v7, v2, s[4:5] scale_offset
	global_load_b32 v8, v[4:5], off
	s_wait_xcnt 0x0
	v_add_nc_u64_e32 v[4:5], s[12:13], v[4:5]
	s_wait_loadcnt 0x1
	v_pk_add_bf16 v6, v6, v7
	s_wait_loadcnt 0x0
	s_delay_alu instid0(VALU_DEP_1) | instskip(NEXT) | instid1(VALU_DEP_1)
	v_pk_add_bf16 v6, v6, v8
	v_dual_lshlrev_b32 v7, 16, v6 :: v_dual_add_nc_u32 v1, s6, v1
	v_and_b32_e32 v8, 0xffff0000, v6
	global_store_b32 v2, v6, s[8:9] scale_offset
	v_add_f32_e32 v3, v3, v7
	v_cmp_le_i32_e32 vcc_lo, s14, v1
	s_delay_alu instid0(VALU_DEP_2)
	v_add_f32_e32 v3, v3, v8
	s_or_b32 s16, vcc_lo, s16
	s_wait_xcnt 0x0
	s_and_not1_b32 exec_lo, exec_lo, s16
	s_cbranch_execnz .LBB23_2
; %bb.3:
	s_or_b32 exec_lo, exec_lo, s16
.LBB23_4:
	s_delay_alu instid0(SALU_CYCLE_1) | instskip(SKIP_2) | instid1(VALU_DEP_1)
	s_or_b32 exec_lo, exec_lo, s3
	v_mbcnt_lo_u32_b32 v2, -1, 0
	s_load_b128 s[4:7], s[0:1], 0x18
	v_xor_b32_e32 v4, 8, v2
	v_xor_b32_e32 v1, 16, v2
	s_delay_alu instid0(VALU_DEP_1) | instskip(SKIP_1) | instid1(VALU_DEP_4)
	v_cmp_gt_i32_e32 vcc_lo, 32, v1
	v_cndmask_b32_e32 v1, v2, v1, vcc_lo
	v_cmp_gt_i32_e32 vcc_lo, 32, v4
	v_cndmask_b32_e32 v4, v2, v4, vcc_lo
	s_delay_alu instid0(VALU_DEP_1)
	v_dual_lshlrev_b32 v4, 2, v4 :: v_dual_lshlrev_b32 v1, 2, v1
	ds_bpermute_b32 v5, v1, v3
	s_wait_dscnt 0x0
	v_dual_add_f32 v3, v3, v5 :: v_dual_bitop2_b32 v5, 4, v2 bitop3:0x14
	ds_bpermute_b32 v6, v4, v3
	v_cmp_gt_i32_e32 vcc_lo, 32, v5
	s_wait_dscnt 0x0
	v_dual_cndmask_b32 v5, v2, v5, vcc_lo :: v_dual_add_f32 v3, v3, v6
	s_delay_alu instid0(VALU_DEP_1)
	v_dual_lshlrev_b32 v5, 2, v5 :: v_dual_bitop2_b32 v6, 2, v2 bitop3:0x14
	ds_bpermute_b32 v7, v5, v3
	v_cmp_gt_i32_e32 vcc_lo, 32, v6
	s_wait_dscnt 0x0
	v_dual_cndmask_b32 v6, v2, v6 :: v_dual_add_f32 v3, v3, v7
	v_xor_b32_e32 v8, 1, v2
	s_delay_alu instid0(VALU_DEP_1) | instskip(NEXT) | instid1(VALU_DEP_3)
	v_cmp_gt_i32_e32 vcc_lo, 32, v8
	v_dual_lshlrev_b32 v6, 2, v6 :: v_dual_cndmask_b32 v2, v2, v8, vcc_lo
	ds_bpermute_b32 v7, v6, v3
	s_wait_dscnt 0x0
	v_dual_add_f32 v3, v3, v7 :: v_dual_lshrrev_b32 v8, 3, v0
	v_dual_lshlrev_b32 v7, 2, v2 :: v_dual_bitop2_b32 v2, 31, v0 bitop3:0x40
	ds_bpermute_b32 v9, v7, v3
	v_cmp_eq_u32_e64 s3, 0, v2
	s_and_saveexec_b32 s12, s3
	s_cbranch_execz .LBB23_6
; %bb.5:
	s_wait_dscnt 0x0
	v_add_f32_e32 v3, v3, v9
	ds_store_b32 v8, v3
.LBB23_6:
	s_or_b32 exec_lo, exec_lo, s12
	s_wait_storecnt_dscnt 0x0
	s_barrier_signal -1
	s_barrier_wait -1
	s_load_b32 s12, s[0:1], 0x3c
	v_dual_mov_b32 v3, 0 :: v_dual_lshlrev_b32 v9, 2, v2
	s_wait_kmcnt 0x0
	s_bfe_u32 s0, s12, 0xb0005
	s_delay_alu instid0(SALU_CYCLE_1)
	v_cmp_gt_u32_e64 s0, s0, v0
	s_and_saveexec_b32 s1, s0
; %bb.7:
	ds_load_b32 v3, v9
; %bb.8:
	s_or_b32 exec_lo, exec_lo, s1
	s_wait_dscnt 0x0
	ds_bpermute_b32 v2, v1, v3
	v_cmp_eq_u32_e64 s1, 0, v0
	s_cvt_f32_i32 s13, s11
	s_wait_dscnt 0x0
	v_add_f32_e32 v2, v3, v2
	ds_bpermute_b32 v3, v4, v2
	s_wait_dscnt 0x0
	v_add_f32_e32 v2, v2, v3
	ds_bpermute_b32 v3, v5, v2
	;; [unrolled: 3-line block ×4, first 2 shown]
	s_and_saveexec_b32 s16, s1
	s_cbranch_execz .LBB23_10
; %bb.9:
	s_wait_dscnt 0x0
	v_add_f32_e32 v2, v2, v3
	s_delay_alu instid0(VALU_DEP_1) | instskip(NEXT) | instid1(VALU_DEP_1)
	v_div_scale_f32 v3, null, s13, s13, v2
	v_rcp_f32_e32 v10, v3
	v_nop
	s_delay_alu instid0(TRANS32_DEP_1) | instskip(NEXT) | instid1(VALU_DEP_1)
	v_fma_f32 v11, -v3, v10, 1.0
	v_fmac_f32_e32 v10, v11, v10
	v_div_scale_f32 v12, vcc_lo, v2, s13, v2
	s_delay_alu instid0(VALU_DEP_1) | instskip(NEXT) | instid1(VALU_DEP_1)
	v_mul_f32_e32 v11, v12, v10
	v_fma_f32 v13, -v3, v11, v12
	s_delay_alu instid0(VALU_DEP_1) | instskip(NEXT) | instid1(VALU_DEP_1)
	v_fmac_f32_e32 v11, v13, v10
	v_fma_f32 v3, -v3, v11, v12
	s_delay_alu instid0(VALU_DEP_1) | instskip(NEXT) | instid1(VALU_DEP_1)
	v_div_fmas_f32 v3, v3, v10, v11
	v_div_fixup_f32 v2, v3, s13, v2
	v_mov_b32_e32 v3, 0
	ds_store_b32 v3, v2 offset:132
.LBB23_10:
	s_or_b32 exec_lo, exec_lo, s16
	s_bfe_u32 s16, ttmp6, 0x4000c
	s_and_b32 s17, ttmp6, 15
	s_add_co_i32 s16, s16, 1
	v_mov_b32_e32 v10, 0
	s_mul_i32 s16, ttmp9, s16
	s_wait_dscnt 0x0
	s_add_co_i32 s17, s17, s16
	s_cmp_eq_u32 s15, 0
	s_barrier_signal -1
	s_cselect_b32 s15, ttmp9, s17
	s_and_b32 s12, 0xffff, s12
	s_mul_i32 s11, s11, s15
	s_barrier_wait -1
	s_and_saveexec_b32 s15, s2
	s_cbranch_execz .LBB23_14
; %bb.11:
	v_dual_mov_b32 v10, 0 :: v_dual_mov_b32 v11, v0
	s_lshr_b32 s17, s11, 1
	s_mov_b32 s16, 0
	ds_load_b32 v2, v10 offset:132
	s_wait_dscnt 0x0
	v_mov_b32_e32 v3, v2
.LBB23_12:                              ; =>This Inner Loop Header: Depth=1
	v_dual_add_nc_u32 v12, s17, v11 :: v_dual_add_nc_u32 v11, s12, v11
	global_load_b32 v12, v12, s[8:9] scale_offset
	v_cmp_le_i32_e32 vcc_lo, s14, v11
	s_or_b32 s16, vcc_lo, s16
	s_wait_loadcnt 0x0
	v_and_b32_e32 v13, 0xffff0000, v12
	v_lshlrev_b32_e32 v12, 16, v12
	s_delay_alu instid0(VALU_DEP_1) | instskip(NEXT) | instid1(VALU_DEP_1)
	v_pk_add_f32 v[12:13], v[12:13], v[2:3] neg_lo:[0,1] neg_hi:[0,1]
	v_pk_mul_f32 v[12:13], v[12:13], v[12:13]
	s_delay_alu instid0(VALU_DEP_1) | instskip(NEXT) | instid1(VALU_DEP_1)
	v_add_f32_e32 v10, v10, v12
	v_add_f32_e32 v10, v13, v10
	s_and_not1_b32 exec_lo, exec_lo, s16
	s_cbranch_execnz .LBB23_12
; %bb.13:
	s_or_b32 exec_lo, exec_lo, s16
.LBB23_14:
	s_delay_alu instid0(SALU_CYCLE_1)
	s_or_b32 exec_lo, exec_lo, s15
	ds_bpermute_b32 v2, v1, v10
	s_wait_dscnt 0x0
	v_add_f32_e32 v2, v10, v2
	ds_bpermute_b32 v3, v4, v2
	s_wait_dscnt 0x0
	v_add_f32_e32 v2, v2, v3
	;; [unrolled: 3-line block ×4, first 2 shown]
	ds_bpermute_b32 v3, v7, v2
	s_and_saveexec_b32 s15, s3
	s_cbranch_execz .LBB23_16
; %bb.15:
	s_wait_dscnt 0x0
	v_add_f32_e32 v2, v2, v3
	ds_store_b32 v8, v2
.LBB23_16:
	s_or_b32 exec_lo, exec_lo, s15
	v_mov_b32_e32 v2, 0
	s_wait_dscnt 0x0
	s_barrier_signal -1
	s_barrier_wait -1
	s_and_saveexec_b32 s3, s0
; %bb.17:
	ds_load_b32 v2, v9
; %bb.18:
	s_or_b32 exec_lo, exec_lo, s3
	s_wait_dscnt 0x0
	ds_bpermute_b32 v1, v1, v2
	s_wait_dscnt 0x0
	v_add_f32_e32 v1, v2, v1
	ds_bpermute_b32 v2, v4, v1
	s_wait_dscnt 0x0
	v_add_f32_e32 v1, v1, v2
	;; [unrolled: 3-line block ×4, first 2 shown]
	ds_bpermute_b32 v2, v7, v1
	s_and_saveexec_b32 s0, s1
	s_cbranch_execz .LBB23_20
; %bb.19:
	s_wait_dscnt 0x0
	v_add_f32_e32 v1, v1, v2
	s_delay_alu instid0(VALU_DEP_1) | instskip(NEXT) | instid1(VALU_DEP_1)
	v_div_scale_f32 v2, null, s13, s13, v1
	v_rcp_f32_e32 v3, v2
	v_nop
	s_delay_alu instid0(TRANS32_DEP_1) | instskip(NEXT) | instid1(VALU_DEP_1)
	v_fma_f32 v4, -v2, v3, 1.0
	v_fmac_f32_e32 v3, v4, v3
	v_div_scale_f32 v5, vcc_lo, v1, s13, v1
	s_delay_alu instid0(VALU_DEP_1) | instskip(NEXT) | instid1(VALU_DEP_1)
	v_mul_f32_e32 v4, v5, v3
	v_fma_f32 v6, -v2, v4, v5
	s_delay_alu instid0(VALU_DEP_1) | instskip(NEXT) | instid1(VALU_DEP_1)
	v_fmac_f32_e32 v4, v6, v3
	v_fma_f32 v2, -v2, v4, v5
	s_delay_alu instid0(VALU_DEP_1) | instskip(NEXT) | instid1(VALU_DEP_1)
	v_div_fmas_f32 v2, v2, v3, v4
	v_div_fixup_f32 v1, v2, s13, v1
	s_delay_alu instid0(VALU_DEP_1) | instskip(NEXT) | instid1(VALU_DEP_1)
	v_add_f32_e32 v1, s10, v1
	v_mul_f32_e32 v2, 0x4b800000, v1
	v_cmp_gt_f32_e32 vcc_lo, 0x800000, v1
	s_delay_alu instid0(VALU_DEP_2) | instskip(NEXT) | instid1(VALU_DEP_1)
	v_cndmask_b32_e32 v1, v1, v2, vcc_lo
	v_rsq_f32_e32 v1, v1
	v_nop
	s_delay_alu instid0(TRANS32_DEP_1) | instskip(NEXT) | instid1(VALU_DEP_1)
	v_mul_f32_e32 v2, 0x45800000, v1
	v_dual_cndmask_b32 v1, v1, v2 :: v_dual_mov_b32 v2, 0
	ds_store_b32 v2, v1 offset:128
.LBB23_20:
	s_or_b32 exec_lo, exec_lo, s0
	s_wait_dscnt 0x0
	s_barrier_signal -1
	s_barrier_wait -1
	s_and_saveexec_b32 s0, s2
	s_cbranch_execz .LBB23_30
; %bb.21:
	v_mov_b32_e32 v1, 0
	s_lshr_b32 s2, s11, 1
	s_mov_b32 s3, exec_lo
	ds_load_b64 v[2:3], v1 offset:128
	v_add_max_i32_e64 v1, v0, 1, s14
	s_delay_alu instid0(VALU_DEP_1) | instskip(NEXT) | instid1(VALU_DEP_1)
	v_sub_nc_u32_e32 v12, v1, v0
	v_cmp_gt_u32_e64 s1, 10, v12
	v_cmpx_lt_u32_e32 9, v12
	s_cbranch_execz .LBB23_27
; %bb.22:
	s_cvt_f32_u32 s0, s12
	v_add_nc_u32_e32 v4, s12, v0
	s_cmp_eq_u32 s12, 1
	s_cselect_b32 s11, -1, 0
	v_rcp_iflag_f32_e32 v1, s0
	s_delay_alu instid0(VALU_DEP_1) | instskip(SKIP_1) | instid1(TRANS32_DEP_1)
	v_cmp_gt_i32_e32 vcc_lo, s14, v4
	s_sub_co_i32 s10, 0, s12
	v_readfirstlane_b32 s0, v1
	v_max_i32_e32 v1, s14, v4
	v_add_co_ci_u32_e64 v4, null, s12, v0, vcc_lo
	s_mul_f32 s0, s0, 0x4f7ffffe
	v_sub_nc_u32_e32 v1, v1, v4
	s_delay_alu instid0(SALU_CYCLE_2) | instskip(NEXT) | instid1(SALU_CYCLE_3)
	s_cvt_u32_f32 s0, s0
	s_mul_i32 s10, s10, s0
	s_delay_alu instid0(SALU_CYCLE_1) | instskip(NEXT) | instid1(SALU_CYCLE_1)
	s_mul_hi_u32 s10, s0, s10
	s_add_co_i32 s0, s0, s10
	s_mov_b32 s10, 0
	v_mul_hi_u32 v4, v1, s0
	s_delay_alu instid0(VALU_DEP_1) | instskip(NEXT) | instid1(VALU_DEP_1)
	v_mul_lo_u32 v5, v4, s12
	v_dual_sub_nc_u32 v1, v1, v5 :: v_dual_add_nc_u32 v5, 1, v4
	s_delay_alu instid0(VALU_DEP_1) | instskip(SKIP_1) | instid1(VALU_DEP_1)
	v_subrev_nc_u32_e32 v6, s12, v1
	v_cmp_le_u32_e64 s0, s12, v1
	v_dual_cndmask_b32 v4, v4, v5, s0 :: v_dual_cndmask_b32 v1, v1, v6, s0
	s_delay_alu instid0(VALU_DEP_1) | instskip(NEXT) | instid1(VALU_DEP_2)
	v_add_nc_u32_e32 v5, 1, v4
	v_cmp_le_u32_e64 s0, s12, v1
	s_delay_alu instid0(VALU_DEP_1) | instskip(NEXT) | instid1(VALU_DEP_1)
	v_dual_add_nc_u32 v6, s2, v0 :: v_dual_cndmask_b32 v1, v4, v5, s0
	v_add_co_ci_u32_e64 v1, null, v6, v1, vcc_lo
	s_delay_alu instid0(VALU_DEP_1)
	v_cmp_ge_i32_e32 vcc_lo, v1, v6
	s_and_b32 s13, s11, vcc_lo
	s_mov_b32 s11, -1
	s_and_saveexec_b32 s0, s13
	s_cbranch_execz .LBB23_26
; %bb.23:
	s_wait_dscnt 0x0
	v_dual_mov_b32 v5, v3 :: v_dual_add_nc_u32 v1, 1, v0
	v_dual_mov_b32 v4, v3 :: v_dual_bitop2_b32 v13, -2, v12 bitop3:0x40
	v_dual_mov_b32 v6, v2 :: v_dual_mov_b32 v7, v2
	s_delay_alu instid0(VALU_DEP_3) | instskip(NEXT) | instid1(VALU_DEP_3)
	v_mov_b64_e32 v[10:11], v[0:1]
	v_dual_mov_b32 v9, 0 :: v_dual_mov_b32 v14, v13
	s_mov_b32 s11, s2
.LBB23_24:                              ; =>This Inner Loop Header: Depth=1
	s_delay_alu instid0(VALU_DEP_2) | instskip(NEXT) | instid1(VALU_DEP_2)
	v_dual_mov_b32 v8, v10 :: v_dual_add_nc_u32 v1, s2, v10
	v_dual_add_nc_u32 v15, s11, v11 :: v_dual_add_nc_u32 v14, -2, v14
	v_add_nc_u32_e32 v10, 2, v10
	s_delay_alu instid0(VALU_DEP_3)
	v_lshlrev_b64_e32 v[16:17], 2, v[8:9]
	v_mov_b32_e32 v8, v11
	s_clause 0x1
	global_load_b32 v24, v15, s[8:9] scale_offset
	global_load_b32 v25, v1, s[8:9] scale_offset
	v_add_nc_u32_e32 v11, 2, v11
	v_cmp_eq_u32_e32 vcc_lo, 0, v14
	v_lshlrev_b64_e32 v[18:19], 2, v[8:9]
	v_add_nc_u64_e32 v[20:21], s[4:5], v[16:17]
	v_add_nc_u64_e32 v[16:17], s[6:7], v[16:17]
	s_or_b32 s10, vcc_lo, s10
	s_delay_alu instid0(VALU_DEP_3)
	v_add_nc_u64_e32 v[22:23], s[4:5], v[18:19]
	v_add_nc_u64_e32 v[18:19], s[6:7], v[18:19]
	s_clause 0x1
	global_load_b32 v8, v[22:23], off
	global_load_b32 v26, v[20:21], off
	s_clause 0x1
	global_load_b32 v27, v[18:19], off
	global_load_b32 v28, v[16:17], off
	s_wait_loadcnt 0x4
	s_wait_xcnt 0x0
	v_dual_lshlrev_b32 v17, 16, v24 :: v_dual_lshlrev_b32 v16, 16, v25
	v_and_b32_e32 v19, 0xffff0000, v24
	v_and_b32_e32 v18, 0xffff0000, v25
	s_delay_alu instid0(VALU_DEP_3) | instskip(NEXT) | instid1(VALU_DEP_2)
	v_pk_add_f32 v[16:17], v[16:17], v[4:5] neg_lo:[0,1] neg_hi:[0,1]
	v_pk_add_f32 v[18:19], v[18:19], v[4:5] neg_lo:[0,1] neg_hi:[0,1]
	s_delay_alu instid0(VALU_DEP_2) | instskip(NEXT) | instid1(VALU_DEP_2)
	v_pk_mul_f32 v[16:17], v[16:17], v[6:7]
	v_pk_mul_f32 v[18:19], v[18:19], v[6:7]
	s_wait_loadcnt 0x2
	v_dual_lshlrev_b32 v21, 16, v8 :: v_dual_lshlrev_b32 v20, 16, v26
	v_and_b32_e32 v23, 0xffff0000, v8
	v_and_b32_e32 v22, 0xffff0000, v26
	s_wait_loadcnt 0x0
	v_dual_lshlrev_b32 v25, 16, v27 :: v_dual_lshlrev_b32 v24, 16, v28
	v_and_b32_e32 v27, 0xffff0000, v27
	v_and_b32_e32 v26, 0xffff0000, v28
	s_delay_alu instid0(VALU_DEP_3) | instskip(NEXT) | instid1(VALU_DEP_2)
	v_pk_fma_f32 v[16:17], v[16:17], v[20:21], v[24:25]
	v_pk_fma_f32 v[18:19], v[18:19], v[22:23], v[26:27]
	s_delay_alu instid0(VALU_DEP_2) | instskip(NEXT) | instid1(VALU_DEP_2)
	v_cvt_pk_bf16_f32 v8, v16, v17
	v_cvt_pk_bf16_f32 v16, v18, v19
	s_delay_alu instid0(VALU_DEP_1)
	v_perm_b32 v17, v16, v8, 0x5040100
	v_perm_b32 v8, v16, v8, 0x7060302
	s_clause 0x1
	global_store_b32 v1, v17, s[8:9] scale_offset
	global_store_b32 v15, v8, s[8:9] scale_offset
	s_wait_xcnt 0x0
	s_and_not1_b32 exec_lo, exec_lo, s10
	s_cbranch_execnz .LBB23_24
; %bb.25:
	s_or_b32 exec_lo, exec_lo, s10
	v_cmp_ne_u32_e32 vcc_lo, v12, v13
	v_add_nc_u32_e32 v0, v0, v13
	s_or_not1_b32 s11, vcc_lo, exec_lo
.LBB23_26:
	s_or_b32 exec_lo, exec_lo, s0
	s_delay_alu instid0(SALU_CYCLE_1) | instskip(SKIP_1) | instid1(SALU_CYCLE_1)
	s_and_not1_b32 s0, s1, exec_lo
	s_and_b32 s1, s11, exec_lo
	s_or_b32 s1, s0, s1
.LBB23_27:
	s_or_b32 exec_lo, exec_lo, s3
	s_delay_alu instid0(SALU_CYCLE_1)
	s_and_b32 exec_lo, exec_lo, s1
	s_cbranch_execz .LBB23_30
; %bb.28:
	s_wait_dscnt 0x0
	v_dual_mov_b32 v1, 0 :: v_dual_mov_b32 v4, v3
	v_dual_mov_b32 v5, v3 :: v_dual_mov_b32 v3, v2
	s_mov_b32 s1, 0
	s_delay_alu instid0(VALU_DEP_2)
	v_lshlrev_b64_e32 v[6:7], 2, v[0:1]
	s_lshl_b32 s0, s12, 2
	s_mov_b32 s3, s1
.LBB23_29:                              ; =>This Inner Loop Header: Depth=1
	v_add_nc_u32_e32 v1, s2, v0
	s_delay_alu instid0(VALU_DEP_2)
	v_add_nc_u64_e32 v[8:9], s[4:5], v[6:7]
	v_add_nc_u64_e32 v[10:11], s[6:7], v[6:7]
	v_add_nc_u32_e32 v0, s12, v0
	v_add_nc_u64_e32 v[6:7], s[0:1], v[6:7]
	global_load_b32 v12, v1, s[8:9] scale_offset
	global_load_b32 v13, v[8:9], off
	global_load_b32 v14, v[10:11], off
	v_cmp_le_i32_e32 vcc_lo, s14, v0
	s_or_b32 s3, vcc_lo, s3
	s_wait_loadcnt 0x2
	s_wait_xcnt 0x1
	v_and_b32_e32 v9, 0xffff0000, v12
	v_lshlrev_b32_e32 v8, 16, v12
	s_wait_loadcnt 0x1
	s_wait_xcnt 0x0
	v_and_b32_e32 v11, 0xffff0000, v13
	s_wait_loadcnt 0x0
	v_dual_lshlrev_b32 v12, 16, v14 :: v_dual_lshlrev_b32 v10, 16, v13
	v_and_b32_e32 v13, 0xffff0000, v14
	v_pk_add_f32 v[8:9], v[8:9], v[4:5] neg_lo:[0,1] neg_hi:[0,1]
	s_delay_alu instid0(VALU_DEP_1) | instskip(NEXT) | instid1(VALU_DEP_1)
	v_pk_mul_f32 v[8:9], v[8:9], v[2:3]
	v_pk_fma_f32 v[8:9], v[8:9], v[10:11], v[12:13]
	s_delay_alu instid0(VALU_DEP_1)
	v_cvt_pk_bf16_f32 v8, v8, v9
	global_store_b32 v1, v8, s[8:9] scale_offset
	s_wait_xcnt 0x0
	s_and_not1_b32 exec_lo, exec_lo, s3
	s_cbranch_execnz .LBB23_29
.LBB23_30:
	s_endpgm
	.section	.rodata,"a",@progbits
	.p2align	6, 0x0
	.amdhsa_kernel _Z35generalAddBiasResidualPostLayerNormI14__hip_bfloat16Li32EEvPT_PKS1_S4_S4_S4_fi
		.amdhsa_group_segment_fixed_size 136
		.amdhsa_private_segment_fixed_size 0
		.amdhsa_kernarg_size 304
		.amdhsa_user_sgpr_count 2
		.amdhsa_user_sgpr_dispatch_ptr 0
		.amdhsa_user_sgpr_queue_ptr 0
		.amdhsa_user_sgpr_kernarg_segment_ptr 1
		.amdhsa_user_sgpr_dispatch_id 0
		.amdhsa_user_sgpr_kernarg_preload_length 0
		.amdhsa_user_sgpr_kernarg_preload_offset 0
		.amdhsa_user_sgpr_private_segment_size 0
		.amdhsa_wavefront_size32 1
		.amdhsa_uses_dynamic_stack 0
		.amdhsa_enable_private_segment 0
		.amdhsa_system_sgpr_workgroup_id_x 1
		.amdhsa_system_sgpr_workgroup_id_y 0
		.amdhsa_system_sgpr_workgroup_id_z 0
		.amdhsa_system_sgpr_workgroup_info 0
		.amdhsa_system_vgpr_workitem_id 0
		.amdhsa_next_free_vgpr 29
		.amdhsa_next_free_sgpr 18
		.amdhsa_named_barrier_count 0
		.amdhsa_reserve_vcc 1
		.amdhsa_float_round_mode_32 0
		.amdhsa_float_round_mode_16_64 0
		.amdhsa_float_denorm_mode_32 3
		.amdhsa_float_denorm_mode_16_64 3
		.amdhsa_fp16_overflow 0
		.amdhsa_memory_ordered 1
		.amdhsa_forward_progress 1
		.amdhsa_inst_pref_size 20
		.amdhsa_round_robin_scheduling 0
		.amdhsa_exception_fp_ieee_invalid_op 0
		.amdhsa_exception_fp_denorm_src 0
		.amdhsa_exception_fp_ieee_div_zero 0
		.amdhsa_exception_fp_ieee_overflow 0
		.amdhsa_exception_fp_ieee_underflow 0
		.amdhsa_exception_fp_ieee_inexact 0
		.amdhsa_exception_int_div_zero 0
	.end_amdhsa_kernel
	.section	.text._Z35generalAddBiasResidualPostLayerNormI14__hip_bfloat16Li32EEvPT_PKS1_S4_S4_S4_fi,"axG",@progbits,_Z35generalAddBiasResidualPostLayerNormI14__hip_bfloat16Li32EEvPT_PKS1_S4_S4_S4_fi,comdat
.Lfunc_end23:
	.size	_Z35generalAddBiasResidualPostLayerNormI14__hip_bfloat16Li32EEvPT_PKS1_S4_S4_S4_fi, .Lfunc_end23-_Z35generalAddBiasResidualPostLayerNormI14__hip_bfloat16Li32EEvPT_PKS1_S4_S4_S4_fi
                                        ; -- End function
	.set _Z35generalAddBiasResidualPostLayerNormI14__hip_bfloat16Li32EEvPT_PKS1_S4_S4_S4_fi.num_vgpr, 29
	.set _Z35generalAddBiasResidualPostLayerNormI14__hip_bfloat16Li32EEvPT_PKS1_S4_S4_S4_fi.num_agpr, 0
	.set _Z35generalAddBiasResidualPostLayerNormI14__hip_bfloat16Li32EEvPT_PKS1_S4_S4_S4_fi.numbered_sgpr, 18
	.set _Z35generalAddBiasResidualPostLayerNormI14__hip_bfloat16Li32EEvPT_PKS1_S4_S4_S4_fi.num_named_barrier, 0
	.set _Z35generalAddBiasResidualPostLayerNormI14__hip_bfloat16Li32EEvPT_PKS1_S4_S4_S4_fi.private_seg_size, 0
	.set _Z35generalAddBiasResidualPostLayerNormI14__hip_bfloat16Li32EEvPT_PKS1_S4_S4_S4_fi.uses_vcc, 1
	.set _Z35generalAddBiasResidualPostLayerNormI14__hip_bfloat16Li32EEvPT_PKS1_S4_S4_S4_fi.uses_flat_scratch, 0
	.set _Z35generalAddBiasResidualPostLayerNormI14__hip_bfloat16Li32EEvPT_PKS1_S4_S4_S4_fi.has_dyn_sized_stack, 0
	.set _Z35generalAddBiasResidualPostLayerNormI14__hip_bfloat16Li32EEvPT_PKS1_S4_S4_S4_fi.has_recursion, 0
	.set _Z35generalAddBiasResidualPostLayerNormI14__hip_bfloat16Li32EEvPT_PKS1_S4_S4_S4_fi.has_indirect_call, 0
	.section	.AMDGPU.csdata,"",@progbits
; Kernel info:
; codeLenInByte = 2500
; TotalNumSgprs: 20
; NumVgprs: 29
; ScratchSize: 0
; MemoryBound: 0
; FloatMode: 240
; IeeeMode: 1
; LDSByteSize: 136 bytes/workgroup (compile time only)
; SGPRBlocks: 0
; VGPRBlocks: 1
; NumSGPRsForWavesPerEU: 20
; NumVGPRsForWavesPerEU: 29
; NamedBarCnt: 0
; Occupancy: 16
; WaveLimiterHint : 0
; COMPUTE_PGM_RSRC2:SCRATCH_EN: 0
; COMPUTE_PGM_RSRC2:USER_SGPR: 2
; COMPUTE_PGM_RSRC2:TRAP_HANDLER: 0
; COMPUTE_PGM_RSRC2:TGID_X_EN: 1
; COMPUTE_PGM_RSRC2:TGID_Y_EN: 0
; COMPUTE_PGM_RSRC2:TGID_Z_EN: 0
; COMPUTE_PGM_RSRC2:TIDIG_COMP_CNT: 0
	.section	.AMDGPU.gpr_maximums,"",@progbits
	.set amdgpu.max_num_vgpr, 0
	.set amdgpu.max_num_agpr, 0
	.set amdgpu.max_num_sgpr, 0
	.section	.AMDGPU.csdata,"",@progbits
	.type	__hip_cuid_56fc77f62a12df72,@object ; @__hip_cuid_56fc77f62a12df72
	.section	.bss,"aw",@nobits
	.globl	__hip_cuid_56fc77f62a12df72
__hip_cuid_56fc77f62a12df72:
	.byte	0                               ; 0x0
	.size	__hip_cuid_56fc77f62a12df72, 1

	.ident	"AMD clang version 22.0.0git (https://github.com/RadeonOpenCompute/llvm-project roc-7.2.4 26084 f58b06dce1f9c15707c5f808fd002e18c2accf7e)"
	.section	".note.GNU-stack","",@progbits
	.addrsig
	.addrsig_sym __hip_cuid_56fc77f62a12df72
	.amdgpu_metadata
---
amdhsa.kernels:
  - .args:
      - .address_space:  global
        .offset:         0
        .size:           8
        .value_kind:     global_buffer
      - .actual_access:  read_only
        .address_space:  global
        .offset:         8
        .size:           8
        .value_kind:     global_buffer
      - .actual_access:  read_only
        .address_space:  global
        .offset:         16
        .size:           8
        .value_kind:     global_buffer
      - .actual_access:  read_only
        .address_space:  global
        .offset:         24
        .size:           8
        .value_kind:     global_buffer
      - .actual_access:  read_only
        .address_space:  global
        .offset:         32
        .size:           8
        .value_kind:     global_buffer
      - .offset:         40
        .size:           4
        .value_kind:     by_value
      - .offset:         44
        .size:           4
        .value_kind:     by_value
      - .offset:         48
        .size:           4
        .value_kind:     hidden_block_count_x
      - .offset:         52
        .size:           4
        .value_kind:     hidden_block_count_y
      - .offset:         56
        .size:           4
        .value_kind:     hidden_block_count_z
      - .offset:         60
        .size:           2
        .value_kind:     hidden_group_size_x
      - .offset:         62
        .size:           2
        .value_kind:     hidden_group_size_y
      - .offset:         64
        .size:           2
        .value_kind:     hidden_group_size_z
      - .offset:         66
        .size:           2
        .value_kind:     hidden_remainder_x
      - .offset:         68
        .size:           2
        .value_kind:     hidden_remainder_y
      - .offset:         70
        .size:           2
        .value_kind:     hidden_remainder_z
      - .offset:         88
        .size:           8
        .value_kind:     hidden_global_offset_x
      - .offset:         96
        .size:           8
        .value_kind:     hidden_global_offset_y
      - .offset:         104
        .size:           8
        .value_kind:     hidden_global_offset_z
      - .offset:         112
        .size:           2
        .value_kind:     hidden_grid_dims
    .group_segment_fixed_size: 72
    .kernarg_segment_align: 8
    .kernarg_segment_size: 304
    .language:       OpenCL C
    .language_version:
      - 2
      - 0
    .max_flat_workgroup_size: 1024
    .name:           _Z30addBiasResidualPostLayerNormV2IfLi64EEvPT_PKS0_S3_S3_S3_fi
    .private_segment_fixed_size: 0
    .sgpr_count:     18
    .sgpr_spill_count: 0
    .symbol:         _Z30addBiasResidualPostLayerNormV2IfLi64EEvPT_PKS0_S3_S3_S3_fi.kd
    .uniform_work_group_size: 1
    .uses_dynamic_stack: false
    .vgpr_count:     44
    .vgpr_spill_count: 0
    .wavefront_size: 32
  - .args:
      - .address_space:  global
        .offset:         0
        .size:           8
        .value_kind:     global_buffer
      - .actual_access:  read_only
        .address_space:  global
        .offset:         8
        .size:           8
        .value_kind:     global_buffer
      - .actual_access:  read_only
        .address_space:  global
        .offset:         16
        .size:           8
        .value_kind:     global_buffer
      - .actual_access:  read_only
        .address_space:  global
        .offset:         24
        .size:           8
        .value_kind:     global_buffer
      - .actual_access:  read_only
        .address_space:  global
        .offset:         32
        .size:           8
        .value_kind:     global_buffer
      - .offset:         40
        .size:           4
        .value_kind:     by_value
      - .offset:         44
        .size:           4
        .value_kind:     by_value
      - .offset:         48
        .size:           4
        .value_kind:     hidden_block_count_x
      - .offset:         52
        .size:           4
        .value_kind:     hidden_block_count_y
      - .offset:         56
        .size:           4
        .value_kind:     hidden_block_count_z
      - .offset:         60
        .size:           2
        .value_kind:     hidden_group_size_x
      - .offset:         62
        .size:           2
        .value_kind:     hidden_group_size_y
      - .offset:         64
        .size:           2
        .value_kind:     hidden_group_size_z
      - .offset:         66
        .size:           2
        .value_kind:     hidden_remainder_x
      - .offset:         68
        .size:           2
        .value_kind:     hidden_remainder_y
      - .offset:         70
        .size:           2
        .value_kind:     hidden_remainder_z
      - .offset:         88
        .size:           8
        .value_kind:     hidden_global_offset_x
      - .offset:         96
        .size:           8
        .value_kind:     hidden_global_offset_y
      - .offset:         104
        .size:           8
        .value_kind:     hidden_global_offset_z
      - .offset:         112
        .size:           2
        .value_kind:     hidden_grid_dims
    .group_segment_fixed_size: 136
    .kernarg_segment_align: 8
    .kernarg_segment_size: 304
    .language:       OpenCL C
    .language_version:
      - 2
      - 0
    .max_flat_workgroup_size: 1024
    .name:           _Z30addBiasResidualPostLayerNormV2IfLi32EEvPT_PKS0_S3_S3_S3_fi
    .private_segment_fixed_size: 0
    .sgpr_count:     18
    .sgpr_spill_count: 0
    .symbol:         _Z30addBiasResidualPostLayerNormV2IfLi32EEvPT_PKS0_S3_S3_S3_fi.kd
    .uniform_work_group_size: 1
    .uses_dynamic_stack: false
    .vgpr_count:     48
    .vgpr_spill_count: 0
    .wavefront_size: 32
  - .args:
      - .address_space:  global
        .offset:         0
        .size:           8
        .value_kind:     global_buffer
      - .actual_access:  read_only
        .address_space:  global
        .offset:         8
        .size:           8
        .value_kind:     global_buffer
      - .actual_access:  read_only
        .address_space:  global
        .offset:         16
        .size:           8
        .value_kind:     global_buffer
      - .actual_access:  read_only
        .address_space:  global
        .offset:         24
        .size:           8
        .value_kind:     global_buffer
      - .actual_access:  read_only
        .address_space:  global
        .offset:         32
        .size:           8
        .value_kind:     global_buffer
      - .offset:         40
        .size:           4
        .value_kind:     by_value
      - .offset:         44
        .size:           4
        .value_kind:     by_value
      - .offset:         48
        .size:           4
        .value_kind:     hidden_block_count_x
      - .offset:         52
        .size:           4
        .value_kind:     hidden_block_count_y
      - .offset:         56
        .size:           4
        .value_kind:     hidden_block_count_z
      - .offset:         60
        .size:           2
        .value_kind:     hidden_group_size_x
      - .offset:         62
        .size:           2
        .value_kind:     hidden_group_size_y
      - .offset:         64
        .size:           2
        .value_kind:     hidden_group_size_z
      - .offset:         66
        .size:           2
        .value_kind:     hidden_remainder_x
      - .offset:         68
        .size:           2
        .value_kind:     hidden_remainder_y
      - .offset:         70
        .size:           2
        .value_kind:     hidden_remainder_z
      - .offset:         88
        .size:           8
        .value_kind:     hidden_global_offset_x
      - .offset:         96
        .size:           8
        .value_kind:     hidden_global_offset_y
      - .offset:         104
        .size:           8
        .value_kind:     hidden_global_offset_z
      - .offset:         112
        .size:           2
        .value_kind:     hidden_grid_dims
    .group_segment_fixed_size: 72
    .kernarg_segment_align: 8
    .kernarg_segment_size: 304
    .language:       OpenCL C
    .language_version:
      - 2
      - 0
    .max_flat_workgroup_size: 1024
    .name:           _Z28addBiasResidualPostLayerNormIfLi1ELi64EEvPT_PKS0_S3_S3_S3_fi
    .private_segment_fixed_size: 0
    .sgpr_count:     18
    .sgpr_spill_count: 0
    .symbol:         _Z28addBiasResidualPostLayerNormIfLi1ELi64EEvPT_PKS0_S3_S3_S3_fi.kd
    .uniform_work_group_size: 1
    .uses_dynamic_stack: false
    .vgpr_count:     16
    .vgpr_spill_count: 0
    .wavefront_size: 32
  - .args:
      - .address_space:  global
        .offset:         0
        .size:           8
        .value_kind:     global_buffer
      - .actual_access:  read_only
        .address_space:  global
        .offset:         8
        .size:           8
        .value_kind:     global_buffer
      - .actual_access:  read_only
        .address_space:  global
        .offset:         16
        .size:           8
        .value_kind:     global_buffer
      - .actual_access:  read_only
        .address_space:  global
        .offset:         24
        .size:           8
        .value_kind:     global_buffer
      - .actual_access:  read_only
        .address_space:  global
        .offset:         32
        .size:           8
        .value_kind:     global_buffer
      - .offset:         40
        .size:           4
        .value_kind:     by_value
      - .offset:         44
        .size:           4
        .value_kind:     by_value
      - .offset:         48
        .size:           4
        .value_kind:     hidden_block_count_x
      - .offset:         52
        .size:           4
        .value_kind:     hidden_block_count_y
      - .offset:         56
        .size:           4
        .value_kind:     hidden_block_count_z
      - .offset:         60
        .size:           2
        .value_kind:     hidden_group_size_x
      - .offset:         62
        .size:           2
        .value_kind:     hidden_group_size_y
      - .offset:         64
        .size:           2
        .value_kind:     hidden_group_size_z
      - .offset:         66
        .size:           2
        .value_kind:     hidden_remainder_x
      - .offset:         68
        .size:           2
        .value_kind:     hidden_remainder_y
      - .offset:         70
        .size:           2
        .value_kind:     hidden_remainder_z
      - .offset:         88
        .size:           8
        .value_kind:     hidden_global_offset_x
      - .offset:         96
        .size:           8
        .value_kind:     hidden_global_offset_y
      - .offset:         104
        .size:           8
        .value_kind:     hidden_global_offset_z
      - .offset:         112
        .size:           2
        .value_kind:     hidden_grid_dims
    .group_segment_fixed_size: 72
    .kernarg_segment_align: 8
    .kernarg_segment_size: 304
    .language:       OpenCL C
    .language_version:
      - 2
      - 0
    .max_flat_workgroup_size: 1024
    .name:           _Z28addBiasResidualPostLayerNormIfLi2ELi64EEvPT_PKS0_S3_S3_S3_fi
    .private_segment_fixed_size: 0
    .sgpr_count:     19
    .sgpr_spill_count: 0
    .symbol:         _Z28addBiasResidualPostLayerNormIfLi2ELi64EEvPT_PKS0_S3_S3_S3_fi.kd
    .uniform_work_group_size: 1
    .uses_dynamic_stack: false
    .vgpr_count:     17
    .vgpr_spill_count: 0
    .wavefront_size: 32
  - .args:
      - .address_space:  global
        .offset:         0
        .size:           8
        .value_kind:     global_buffer
      - .actual_access:  read_only
        .address_space:  global
        .offset:         8
        .size:           8
        .value_kind:     global_buffer
      - .actual_access:  read_only
        .address_space:  global
        .offset:         16
        .size:           8
        .value_kind:     global_buffer
      - .actual_access:  read_only
        .address_space:  global
        .offset:         24
        .size:           8
        .value_kind:     global_buffer
      - .actual_access:  read_only
        .address_space:  global
        .offset:         32
        .size:           8
        .value_kind:     global_buffer
      - .offset:         40
        .size:           4
        .value_kind:     by_value
      - .offset:         44
        .size:           4
        .value_kind:     by_value
      - .offset:         48
        .size:           4
        .value_kind:     hidden_block_count_x
      - .offset:         52
        .size:           4
        .value_kind:     hidden_block_count_y
      - .offset:         56
        .size:           4
        .value_kind:     hidden_block_count_z
      - .offset:         60
        .size:           2
        .value_kind:     hidden_group_size_x
      - .offset:         62
        .size:           2
        .value_kind:     hidden_group_size_y
      - .offset:         64
        .size:           2
        .value_kind:     hidden_group_size_z
      - .offset:         66
        .size:           2
        .value_kind:     hidden_remainder_x
      - .offset:         68
        .size:           2
        .value_kind:     hidden_remainder_y
      - .offset:         70
        .size:           2
        .value_kind:     hidden_remainder_z
      - .offset:         88
        .size:           8
        .value_kind:     hidden_global_offset_x
      - .offset:         96
        .size:           8
        .value_kind:     hidden_global_offset_y
      - .offset:         104
        .size:           8
        .value_kind:     hidden_global_offset_z
      - .offset:         112
        .size:           2
        .value_kind:     hidden_grid_dims
    .group_segment_fixed_size: 72
    .kernarg_segment_align: 8
    .kernarg_segment_size: 304
    .language:       OpenCL C
    .language_version:
      - 2
      - 0
    .max_flat_workgroup_size: 1024
    .name:           _Z35generalAddBiasResidualPostLayerNormIfLi64EEvPT_PKS0_S3_S3_S3_fi
    .private_segment_fixed_size: 0
    .sgpr_count:     20
    .sgpr_spill_count: 0
    .symbol:         _Z35generalAddBiasResidualPostLayerNormIfLi64EEvPT_PKS0_S3_S3_S3_fi.kd
    .uniform_work_group_size: 1
    .uses_dynamic_stack: false
    .vgpr_count:     36
    .vgpr_spill_count: 0
    .wavefront_size: 32
  - .args:
      - .address_space:  global
        .offset:         0
        .size:           8
        .value_kind:     global_buffer
      - .actual_access:  read_only
        .address_space:  global
        .offset:         8
        .size:           8
        .value_kind:     global_buffer
      - .actual_access:  read_only
        .address_space:  global
        .offset:         16
        .size:           8
        .value_kind:     global_buffer
      - .actual_access:  read_only
        .address_space:  global
        .offset:         24
        .size:           8
        .value_kind:     global_buffer
      - .actual_access:  read_only
        .address_space:  global
        .offset:         32
        .size:           8
        .value_kind:     global_buffer
      - .offset:         40
        .size:           4
        .value_kind:     by_value
      - .offset:         44
        .size:           4
        .value_kind:     by_value
      - .offset:         48
        .size:           4
        .value_kind:     hidden_block_count_x
      - .offset:         52
        .size:           4
        .value_kind:     hidden_block_count_y
      - .offset:         56
        .size:           4
        .value_kind:     hidden_block_count_z
      - .offset:         60
        .size:           2
        .value_kind:     hidden_group_size_x
      - .offset:         62
        .size:           2
        .value_kind:     hidden_group_size_y
      - .offset:         64
        .size:           2
        .value_kind:     hidden_group_size_z
      - .offset:         66
        .size:           2
        .value_kind:     hidden_remainder_x
      - .offset:         68
        .size:           2
        .value_kind:     hidden_remainder_y
      - .offset:         70
        .size:           2
        .value_kind:     hidden_remainder_z
      - .offset:         88
        .size:           8
        .value_kind:     hidden_global_offset_x
      - .offset:         96
        .size:           8
        .value_kind:     hidden_global_offset_y
      - .offset:         104
        .size:           8
        .value_kind:     hidden_global_offset_z
      - .offset:         112
        .size:           2
        .value_kind:     hidden_grid_dims
    .group_segment_fixed_size: 136
    .kernarg_segment_align: 8
    .kernarg_segment_size: 304
    .language:       OpenCL C
    .language_version:
      - 2
      - 0
    .max_flat_workgroup_size: 1024
    .name:           _Z28addBiasResidualPostLayerNormIfLi1ELi32EEvPT_PKS0_S3_S3_S3_fi
    .private_segment_fixed_size: 0
    .sgpr_count:     18
    .sgpr_spill_count: 0
    .symbol:         _Z28addBiasResidualPostLayerNormIfLi1ELi32EEvPT_PKS0_S3_S3_S3_fi.kd
    .uniform_work_group_size: 1
    .uses_dynamic_stack: false
    .vgpr_count:     15
    .vgpr_spill_count: 0
    .wavefront_size: 32
  - .args:
      - .address_space:  global
        .offset:         0
        .size:           8
        .value_kind:     global_buffer
      - .actual_access:  read_only
        .address_space:  global
        .offset:         8
        .size:           8
        .value_kind:     global_buffer
      - .actual_access:  read_only
        .address_space:  global
        .offset:         16
        .size:           8
        .value_kind:     global_buffer
      - .actual_access:  read_only
        .address_space:  global
        .offset:         24
        .size:           8
        .value_kind:     global_buffer
      - .actual_access:  read_only
        .address_space:  global
        .offset:         32
        .size:           8
        .value_kind:     global_buffer
      - .offset:         40
        .size:           4
        .value_kind:     by_value
      - .offset:         44
        .size:           4
        .value_kind:     by_value
      - .offset:         48
        .size:           4
        .value_kind:     hidden_block_count_x
      - .offset:         52
        .size:           4
        .value_kind:     hidden_block_count_y
      - .offset:         56
        .size:           4
        .value_kind:     hidden_block_count_z
      - .offset:         60
        .size:           2
        .value_kind:     hidden_group_size_x
      - .offset:         62
        .size:           2
        .value_kind:     hidden_group_size_y
      - .offset:         64
        .size:           2
        .value_kind:     hidden_group_size_z
      - .offset:         66
        .size:           2
        .value_kind:     hidden_remainder_x
      - .offset:         68
        .size:           2
        .value_kind:     hidden_remainder_y
      - .offset:         70
        .size:           2
        .value_kind:     hidden_remainder_z
      - .offset:         88
        .size:           8
        .value_kind:     hidden_global_offset_x
      - .offset:         96
        .size:           8
        .value_kind:     hidden_global_offset_y
      - .offset:         104
        .size:           8
        .value_kind:     hidden_global_offset_z
      - .offset:         112
        .size:           2
        .value_kind:     hidden_grid_dims
    .group_segment_fixed_size: 136
    .kernarg_segment_align: 8
    .kernarg_segment_size: 304
    .language:       OpenCL C
    .language_version:
      - 2
      - 0
    .max_flat_workgroup_size: 1024
    .name:           _Z28addBiasResidualPostLayerNormIfLi2ELi32EEvPT_PKS0_S3_S3_S3_fi
    .private_segment_fixed_size: 0
    .sgpr_count:     19
    .sgpr_spill_count: 0
    .symbol:         _Z28addBiasResidualPostLayerNormIfLi2ELi32EEvPT_PKS0_S3_S3_S3_fi.kd
    .uniform_work_group_size: 1
    .uses_dynamic_stack: false
    .vgpr_count:     16
    .vgpr_spill_count: 0
    .wavefront_size: 32
  - .args:
      - .address_space:  global
        .offset:         0
        .size:           8
        .value_kind:     global_buffer
      - .actual_access:  read_only
        .address_space:  global
        .offset:         8
        .size:           8
        .value_kind:     global_buffer
      - .actual_access:  read_only
        .address_space:  global
        .offset:         16
        .size:           8
        .value_kind:     global_buffer
      - .actual_access:  read_only
        .address_space:  global
        .offset:         24
        .size:           8
        .value_kind:     global_buffer
      - .actual_access:  read_only
        .address_space:  global
        .offset:         32
        .size:           8
        .value_kind:     global_buffer
      - .offset:         40
        .size:           4
        .value_kind:     by_value
      - .offset:         44
        .size:           4
        .value_kind:     by_value
      - .offset:         48
        .size:           4
        .value_kind:     hidden_block_count_x
      - .offset:         52
        .size:           4
        .value_kind:     hidden_block_count_y
      - .offset:         56
        .size:           4
        .value_kind:     hidden_block_count_z
      - .offset:         60
        .size:           2
        .value_kind:     hidden_group_size_x
      - .offset:         62
        .size:           2
        .value_kind:     hidden_group_size_y
      - .offset:         64
        .size:           2
        .value_kind:     hidden_group_size_z
      - .offset:         66
        .size:           2
        .value_kind:     hidden_remainder_x
      - .offset:         68
        .size:           2
        .value_kind:     hidden_remainder_y
      - .offset:         70
        .size:           2
        .value_kind:     hidden_remainder_z
      - .offset:         88
        .size:           8
        .value_kind:     hidden_global_offset_x
      - .offset:         96
        .size:           8
        .value_kind:     hidden_global_offset_y
      - .offset:         104
        .size:           8
        .value_kind:     hidden_global_offset_z
      - .offset:         112
        .size:           2
        .value_kind:     hidden_grid_dims
    .group_segment_fixed_size: 136
    .kernarg_segment_align: 8
    .kernarg_segment_size: 304
    .language:       OpenCL C
    .language_version:
      - 2
      - 0
    .max_flat_workgroup_size: 1024
    .name:           _Z35generalAddBiasResidualPostLayerNormIfLi32EEvPT_PKS0_S3_S3_S3_fi
    .private_segment_fixed_size: 0
    .sgpr_count:     20
    .sgpr_spill_count: 0
    .symbol:         _Z35generalAddBiasResidualPostLayerNormIfLi32EEvPT_PKS0_S3_S3_S3_fi.kd
    .uniform_work_group_size: 1
    .uses_dynamic_stack: false
    .vgpr_count:     36
    .vgpr_spill_count: 0
    .wavefront_size: 32
  - .args:
      - .address_space:  global
        .offset:         0
        .size:           8
        .value_kind:     global_buffer
      - .actual_access:  read_only
        .address_space:  global
        .offset:         8
        .size:           8
        .value_kind:     global_buffer
      - .actual_access:  read_only
        .address_space:  global
        .offset:         16
        .size:           8
        .value_kind:     global_buffer
      - .actual_access:  read_only
        .address_space:  global
        .offset:         24
        .size:           8
        .value_kind:     global_buffer
      - .actual_access:  read_only
        .address_space:  global
        .offset:         32
        .size:           8
        .value_kind:     global_buffer
      - .offset:         40
        .size:           4
        .value_kind:     by_value
      - .offset:         44
        .size:           4
        .value_kind:     by_value
      - .offset:         48
        .size:           4
        .value_kind:     hidden_block_count_x
      - .offset:         52
        .size:           4
        .value_kind:     hidden_block_count_y
      - .offset:         56
        .size:           4
        .value_kind:     hidden_block_count_z
      - .offset:         60
        .size:           2
        .value_kind:     hidden_group_size_x
      - .offset:         62
        .size:           2
        .value_kind:     hidden_group_size_y
      - .offset:         64
        .size:           2
        .value_kind:     hidden_group_size_z
      - .offset:         66
        .size:           2
        .value_kind:     hidden_remainder_x
      - .offset:         68
        .size:           2
        .value_kind:     hidden_remainder_y
      - .offset:         70
        .size:           2
        .value_kind:     hidden_remainder_z
      - .offset:         88
        .size:           8
        .value_kind:     hidden_global_offset_x
      - .offset:         96
        .size:           8
        .value_kind:     hidden_global_offset_y
      - .offset:         104
        .size:           8
        .value_kind:     hidden_global_offset_z
      - .offset:         112
        .size:           2
        .value_kind:     hidden_grid_dims
    .group_segment_fixed_size: 72
    .kernarg_segment_align: 8
    .kernarg_segment_size: 304
    .language:       OpenCL C
    .language_version:
      - 2
      - 0
    .max_flat_workgroup_size: 1024
    .name:           _Z30addBiasResidualPostLayerNormV2I6__halfLi64EEvPT_PKS1_S4_S4_S4_fi
    .private_segment_fixed_size: 0
    .sgpr_count:     18
    .sgpr_spill_count: 0
    .symbol:         _Z30addBiasResidualPostLayerNormV2I6__halfLi64EEvPT_PKS1_S4_S4_S4_fi.kd
    .uniform_work_group_size: 1
    .uses_dynamic_stack: false
    .vgpr_count:     29
    .vgpr_spill_count: 0
    .wavefront_size: 32
  - .args:
      - .address_space:  global
        .offset:         0
        .size:           8
        .value_kind:     global_buffer
      - .actual_access:  read_only
        .address_space:  global
        .offset:         8
        .size:           8
        .value_kind:     global_buffer
      - .actual_access:  read_only
        .address_space:  global
        .offset:         16
        .size:           8
        .value_kind:     global_buffer
      - .actual_access:  read_only
        .address_space:  global
        .offset:         24
        .size:           8
        .value_kind:     global_buffer
      - .actual_access:  read_only
        .address_space:  global
        .offset:         32
        .size:           8
        .value_kind:     global_buffer
      - .offset:         40
        .size:           4
        .value_kind:     by_value
      - .offset:         44
        .size:           4
        .value_kind:     by_value
      - .offset:         48
        .size:           4
        .value_kind:     hidden_block_count_x
      - .offset:         52
        .size:           4
        .value_kind:     hidden_block_count_y
      - .offset:         56
        .size:           4
        .value_kind:     hidden_block_count_z
      - .offset:         60
        .size:           2
        .value_kind:     hidden_group_size_x
      - .offset:         62
        .size:           2
        .value_kind:     hidden_group_size_y
      - .offset:         64
        .size:           2
        .value_kind:     hidden_group_size_z
      - .offset:         66
        .size:           2
        .value_kind:     hidden_remainder_x
      - .offset:         68
        .size:           2
        .value_kind:     hidden_remainder_y
      - .offset:         70
        .size:           2
        .value_kind:     hidden_remainder_z
      - .offset:         88
        .size:           8
        .value_kind:     hidden_global_offset_x
      - .offset:         96
        .size:           8
        .value_kind:     hidden_global_offset_y
      - .offset:         104
        .size:           8
        .value_kind:     hidden_global_offset_z
      - .offset:         112
        .size:           2
        .value_kind:     hidden_grid_dims
    .group_segment_fixed_size: 136
    .kernarg_segment_align: 8
    .kernarg_segment_size: 304
    .language:       OpenCL C
    .language_version:
      - 2
      - 0
    .max_flat_workgroup_size: 1024
    .name:           _Z30addBiasResidualPostLayerNormV2I6__halfLi32EEvPT_PKS1_S4_S4_S4_fi
    .private_segment_fixed_size: 0
    .sgpr_count:     18
    .sgpr_spill_count: 0
    .symbol:         _Z30addBiasResidualPostLayerNormV2I6__halfLi32EEvPT_PKS1_S4_S4_S4_fi.kd
    .uniform_work_group_size: 1
    .uses_dynamic_stack: false
    .vgpr_count:     34
    .vgpr_spill_count: 0
    .wavefront_size: 32
  - .args:
      - .address_space:  global
        .offset:         0
        .size:           8
        .value_kind:     global_buffer
      - .actual_access:  read_only
        .address_space:  global
        .offset:         8
        .size:           8
        .value_kind:     global_buffer
      - .actual_access:  read_only
        .address_space:  global
        .offset:         16
        .size:           8
        .value_kind:     global_buffer
      - .actual_access:  read_only
        .address_space:  global
        .offset:         24
        .size:           8
        .value_kind:     global_buffer
      - .actual_access:  read_only
        .address_space:  global
        .offset:         32
        .size:           8
        .value_kind:     global_buffer
      - .offset:         40
        .size:           4
        .value_kind:     by_value
      - .offset:         44
        .size:           4
        .value_kind:     by_value
      - .offset:         48
        .size:           4
        .value_kind:     hidden_block_count_x
      - .offset:         52
        .size:           4
        .value_kind:     hidden_block_count_y
      - .offset:         56
        .size:           4
        .value_kind:     hidden_block_count_z
      - .offset:         60
        .size:           2
        .value_kind:     hidden_group_size_x
      - .offset:         62
        .size:           2
        .value_kind:     hidden_group_size_y
      - .offset:         64
        .size:           2
        .value_kind:     hidden_group_size_z
      - .offset:         66
        .size:           2
        .value_kind:     hidden_remainder_x
      - .offset:         68
        .size:           2
        .value_kind:     hidden_remainder_y
      - .offset:         70
        .size:           2
        .value_kind:     hidden_remainder_z
      - .offset:         88
        .size:           8
        .value_kind:     hidden_global_offset_x
      - .offset:         96
        .size:           8
        .value_kind:     hidden_global_offset_y
      - .offset:         104
        .size:           8
        .value_kind:     hidden_global_offset_z
      - .offset:         112
        .size:           2
        .value_kind:     hidden_grid_dims
    .group_segment_fixed_size: 72
    .kernarg_segment_align: 8
    .kernarg_segment_size: 304
    .language:       OpenCL C
    .language_version:
      - 2
      - 0
    .max_flat_workgroup_size: 1024
    .name:           _Z28addBiasResidualPostLayerNormI6__halfLi1ELi64EEvPT_PKS1_S4_S4_S4_fi
    .private_segment_fixed_size: 0
    .sgpr_count:     18
    .sgpr_spill_count: 0
    .symbol:         _Z28addBiasResidualPostLayerNormI6__halfLi1ELi64EEvPT_PKS1_S4_S4_S4_fi.kd
    .uniform_work_group_size: 1
    .uses_dynamic_stack: false
    .vgpr_count:     16
    .vgpr_spill_count: 0
    .wavefront_size: 32
  - .args:
      - .address_space:  global
        .offset:         0
        .size:           8
        .value_kind:     global_buffer
      - .actual_access:  read_only
        .address_space:  global
        .offset:         8
        .size:           8
        .value_kind:     global_buffer
      - .actual_access:  read_only
        .address_space:  global
        .offset:         16
        .size:           8
        .value_kind:     global_buffer
      - .actual_access:  read_only
        .address_space:  global
        .offset:         24
        .size:           8
        .value_kind:     global_buffer
      - .actual_access:  read_only
        .address_space:  global
        .offset:         32
        .size:           8
        .value_kind:     global_buffer
      - .offset:         40
        .size:           4
        .value_kind:     by_value
      - .offset:         44
        .size:           4
        .value_kind:     by_value
      - .offset:         48
        .size:           4
        .value_kind:     hidden_block_count_x
      - .offset:         52
        .size:           4
        .value_kind:     hidden_block_count_y
      - .offset:         56
        .size:           4
        .value_kind:     hidden_block_count_z
      - .offset:         60
        .size:           2
        .value_kind:     hidden_group_size_x
      - .offset:         62
        .size:           2
        .value_kind:     hidden_group_size_y
      - .offset:         64
        .size:           2
        .value_kind:     hidden_group_size_z
      - .offset:         66
        .size:           2
        .value_kind:     hidden_remainder_x
      - .offset:         68
        .size:           2
        .value_kind:     hidden_remainder_y
      - .offset:         70
        .size:           2
        .value_kind:     hidden_remainder_z
      - .offset:         88
        .size:           8
        .value_kind:     hidden_global_offset_x
      - .offset:         96
        .size:           8
        .value_kind:     hidden_global_offset_y
      - .offset:         104
        .size:           8
        .value_kind:     hidden_global_offset_z
      - .offset:         112
        .size:           2
        .value_kind:     hidden_grid_dims
    .group_segment_fixed_size: 72
    .kernarg_segment_align: 8
    .kernarg_segment_size: 304
    .language:       OpenCL C
    .language_version:
      - 2
      - 0
    .max_flat_workgroup_size: 1024
    .name:           _Z28addBiasResidualPostLayerNormI6__halfLi2ELi64EEvPT_PKS1_S4_S4_S4_fi
    .private_segment_fixed_size: 0
    .sgpr_count:     19
    .sgpr_spill_count: 0
    .symbol:         _Z28addBiasResidualPostLayerNormI6__halfLi2ELi64EEvPT_PKS1_S4_S4_S4_fi.kd
    .uniform_work_group_size: 1
    .uses_dynamic_stack: false
    .vgpr_count:     17
    .vgpr_spill_count: 0
    .wavefront_size: 32
  - .args:
      - .address_space:  global
        .offset:         0
        .size:           8
        .value_kind:     global_buffer
      - .actual_access:  read_only
        .address_space:  global
        .offset:         8
        .size:           8
        .value_kind:     global_buffer
      - .actual_access:  read_only
        .address_space:  global
        .offset:         16
        .size:           8
        .value_kind:     global_buffer
      - .actual_access:  read_only
        .address_space:  global
        .offset:         24
        .size:           8
        .value_kind:     global_buffer
      - .actual_access:  read_only
        .address_space:  global
        .offset:         32
        .size:           8
        .value_kind:     global_buffer
      - .offset:         40
        .size:           4
        .value_kind:     by_value
      - .offset:         44
        .size:           4
        .value_kind:     by_value
      - .offset:         48
        .size:           4
        .value_kind:     hidden_block_count_x
      - .offset:         52
        .size:           4
        .value_kind:     hidden_block_count_y
      - .offset:         56
        .size:           4
        .value_kind:     hidden_block_count_z
      - .offset:         60
        .size:           2
        .value_kind:     hidden_group_size_x
      - .offset:         62
        .size:           2
        .value_kind:     hidden_group_size_y
      - .offset:         64
        .size:           2
        .value_kind:     hidden_group_size_z
      - .offset:         66
        .size:           2
        .value_kind:     hidden_remainder_x
      - .offset:         68
        .size:           2
        .value_kind:     hidden_remainder_y
      - .offset:         70
        .size:           2
        .value_kind:     hidden_remainder_z
      - .offset:         88
        .size:           8
        .value_kind:     hidden_global_offset_x
      - .offset:         96
        .size:           8
        .value_kind:     hidden_global_offset_y
      - .offset:         104
        .size:           8
        .value_kind:     hidden_global_offset_z
      - .offset:         112
        .size:           2
        .value_kind:     hidden_grid_dims
    .group_segment_fixed_size: 72
    .kernarg_segment_align: 8
    .kernarg_segment_size: 304
    .language:       OpenCL C
    .language_version:
      - 2
      - 0
    .max_flat_workgroup_size: 1024
    .name:           _Z35generalAddBiasResidualPostLayerNormI6__halfLi64EEvPT_PKS1_S4_S4_S4_fi
    .private_segment_fixed_size: 0
    .sgpr_count:     20
    .sgpr_spill_count: 0
    .symbol:         _Z35generalAddBiasResidualPostLayerNormI6__halfLi64EEvPT_PKS1_S4_S4_S4_fi.kd
    .uniform_work_group_size: 1
    .uses_dynamic_stack: false
    .vgpr_count:     16
    .vgpr_spill_count: 0
    .wavefront_size: 32
  - .args:
      - .address_space:  global
        .offset:         0
        .size:           8
        .value_kind:     global_buffer
      - .actual_access:  read_only
        .address_space:  global
        .offset:         8
        .size:           8
        .value_kind:     global_buffer
      - .actual_access:  read_only
        .address_space:  global
        .offset:         16
        .size:           8
        .value_kind:     global_buffer
      - .actual_access:  read_only
        .address_space:  global
        .offset:         24
        .size:           8
        .value_kind:     global_buffer
      - .actual_access:  read_only
        .address_space:  global
        .offset:         32
        .size:           8
        .value_kind:     global_buffer
      - .offset:         40
        .size:           4
        .value_kind:     by_value
      - .offset:         44
        .size:           4
        .value_kind:     by_value
      - .offset:         48
        .size:           4
        .value_kind:     hidden_block_count_x
      - .offset:         52
        .size:           4
        .value_kind:     hidden_block_count_y
      - .offset:         56
        .size:           4
        .value_kind:     hidden_block_count_z
      - .offset:         60
        .size:           2
        .value_kind:     hidden_group_size_x
      - .offset:         62
        .size:           2
        .value_kind:     hidden_group_size_y
      - .offset:         64
        .size:           2
        .value_kind:     hidden_group_size_z
      - .offset:         66
        .size:           2
        .value_kind:     hidden_remainder_x
      - .offset:         68
        .size:           2
        .value_kind:     hidden_remainder_y
      - .offset:         70
        .size:           2
        .value_kind:     hidden_remainder_z
      - .offset:         88
        .size:           8
        .value_kind:     hidden_global_offset_x
      - .offset:         96
        .size:           8
        .value_kind:     hidden_global_offset_y
      - .offset:         104
        .size:           8
        .value_kind:     hidden_global_offset_z
      - .offset:         112
        .size:           2
        .value_kind:     hidden_grid_dims
    .group_segment_fixed_size: 136
    .kernarg_segment_align: 8
    .kernarg_segment_size: 304
    .language:       OpenCL C
    .language_version:
      - 2
      - 0
    .max_flat_workgroup_size: 1024
    .name:           _Z28addBiasResidualPostLayerNormI6__halfLi1ELi32EEvPT_PKS1_S4_S4_S4_fi
    .private_segment_fixed_size: 0
    .sgpr_count:     18
    .sgpr_spill_count: 0
    .symbol:         _Z28addBiasResidualPostLayerNormI6__halfLi1ELi32EEvPT_PKS1_S4_S4_S4_fi.kd
    .uniform_work_group_size: 1
    .uses_dynamic_stack: false
    .vgpr_count:     15
    .vgpr_spill_count: 0
    .wavefront_size: 32
  - .args:
      - .address_space:  global
        .offset:         0
        .size:           8
        .value_kind:     global_buffer
      - .actual_access:  read_only
        .address_space:  global
        .offset:         8
        .size:           8
        .value_kind:     global_buffer
      - .actual_access:  read_only
        .address_space:  global
        .offset:         16
        .size:           8
        .value_kind:     global_buffer
      - .actual_access:  read_only
        .address_space:  global
        .offset:         24
        .size:           8
        .value_kind:     global_buffer
      - .actual_access:  read_only
        .address_space:  global
        .offset:         32
        .size:           8
        .value_kind:     global_buffer
      - .offset:         40
        .size:           4
        .value_kind:     by_value
      - .offset:         44
        .size:           4
        .value_kind:     by_value
      - .offset:         48
        .size:           4
        .value_kind:     hidden_block_count_x
      - .offset:         52
        .size:           4
        .value_kind:     hidden_block_count_y
      - .offset:         56
        .size:           4
        .value_kind:     hidden_block_count_z
      - .offset:         60
        .size:           2
        .value_kind:     hidden_group_size_x
      - .offset:         62
        .size:           2
        .value_kind:     hidden_group_size_y
      - .offset:         64
        .size:           2
        .value_kind:     hidden_group_size_z
      - .offset:         66
        .size:           2
        .value_kind:     hidden_remainder_x
      - .offset:         68
        .size:           2
        .value_kind:     hidden_remainder_y
      - .offset:         70
        .size:           2
        .value_kind:     hidden_remainder_z
      - .offset:         88
        .size:           8
        .value_kind:     hidden_global_offset_x
      - .offset:         96
        .size:           8
        .value_kind:     hidden_global_offset_y
      - .offset:         104
        .size:           8
        .value_kind:     hidden_global_offset_z
      - .offset:         112
        .size:           2
        .value_kind:     hidden_grid_dims
    .group_segment_fixed_size: 136
    .kernarg_segment_align: 8
    .kernarg_segment_size: 304
    .language:       OpenCL C
    .language_version:
      - 2
      - 0
    .max_flat_workgroup_size: 1024
    .name:           _Z28addBiasResidualPostLayerNormI6__halfLi2ELi32EEvPT_PKS1_S4_S4_S4_fi
    .private_segment_fixed_size: 0
    .sgpr_count:     19
    .sgpr_spill_count: 0
    .symbol:         _Z28addBiasResidualPostLayerNormI6__halfLi2ELi32EEvPT_PKS1_S4_S4_S4_fi.kd
    .uniform_work_group_size: 1
    .uses_dynamic_stack: false
    .vgpr_count:     16
    .vgpr_spill_count: 0
    .wavefront_size: 32
  - .args:
      - .address_space:  global
        .offset:         0
        .size:           8
        .value_kind:     global_buffer
      - .actual_access:  read_only
        .address_space:  global
        .offset:         8
        .size:           8
        .value_kind:     global_buffer
      - .actual_access:  read_only
        .address_space:  global
        .offset:         16
        .size:           8
        .value_kind:     global_buffer
      - .actual_access:  read_only
        .address_space:  global
        .offset:         24
        .size:           8
        .value_kind:     global_buffer
      - .actual_access:  read_only
        .address_space:  global
        .offset:         32
        .size:           8
        .value_kind:     global_buffer
      - .offset:         40
        .size:           4
        .value_kind:     by_value
      - .offset:         44
        .size:           4
        .value_kind:     by_value
      - .offset:         48
        .size:           4
        .value_kind:     hidden_block_count_x
      - .offset:         52
        .size:           4
        .value_kind:     hidden_block_count_y
      - .offset:         56
        .size:           4
        .value_kind:     hidden_block_count_z
      - .offset:         60
        .size:           2
        .value_kind:     hidden_group_size_x
      - .offset:         62
        .size:           2
        .value_kind:     hidden_group_size_y
      - .offset:         64
        .size:           2
        .value_kind:     hidden_group_size_z
      - .offset:         66
        .size:           2
        .value_kind:     hidden_remainder_x
      - .offset:         68
        .size:           2
        .value_kind:     hidden_remainder_y
      - .offset:         70
        .size:           2
        .value_kind:     hidden_remainder_z
      - .offset:         88
        .size:           8
        .value_kind:     hidden_global_offset_x
      - .offset:         96
        .size:           8
        .value_kind:     hidden_global_offset_y
      - .offset:         104
        .size:           8
        .value_kind:     hidden_global_offset_z
      - .offset:         112
        .size:           2
        .value_kind:     hidden_grid_dims
    .group_segment_fixed_size: 136
    .kernarg_segment_align: 8
    .kernarg_segment_size: 304
    .language:       OpenCL C
    .language_version:
      - 2
      - 0
    .max_flat_workgroup_size: 1024
    .name:           _Z35generalAddBiasResidualPostLayerNormI6__halfLi32EEvPT_PKS1_S4_S4_S4_fi
    .private_segment_fixed_size: 0
    .sgpr_count:     20
    .sgpr_spill_count: 0
    .symbol:         _Z35generalAddBiasResidualPostLayerNormI6__halfLi32EEvPT_PKS1_S4_S4_S4_fi.kd
    .uniform_work_group_size: 1
    .uses_dynamic_stack: false
    .vgpr_count:     16
    .vgpr_spill_count: 0
    .wavefront_size: 32
  - .args:
      - .address_space:  global
        .offset:         0
        .size:           8
        .value_kind:     global_buffer
      - .actual_access:  read_only
        .address_space:  global
        .offset:         8
        .size:           8
        .value_kind:     global_buffer
      - .actual_access:  read_only
        .address_space:  global
        .offset:         16
        .size:           8
        .value_kind:     global_buffer
      - .actual_access:  read_only
        .address_space:  global
        .offset:         24
        .size:           8
        .value_kind:     global_buffer
      - .actual_access:  read_only
        .address_space:  global
        .offset:         32
        .size:           8
        .value_kind:     global_buffer
      - .offset:         40
        .size:           4
        .value_kind:     by_value
      - .offset:         44
        .size:           4
        .value_kind:     by_value
      - .offset:         48
        .size:           4
        .value_kind:     hidden_block_count_x
      - .offset:         52
        .size:           4
        .value_kind:     hidden_block_count_y
      - .offset:         56
        .size:           4
        .value_kind:     hidden_block_count_z
      - .offset:         60
        .size:           2
        .value_kind:     hidden_group_size_x
      - .offset:         62
        .size:           2
        .value_kind:     hidden_group_size_y
      - .offset:         64
        .size:           2
        .value_kind:     hidden_group_size_z
      - .offset:         66
        .size:           2
        .value_kind:     hidden_remainder_x
      - .offset:         68
        .size:           2
        .value_kind:     hidden_remainder_y
      - .offset:         70
        .size:           2
        .value_kind:     hidden_remainder_z
      - .offset:         88
        .size:           8
        .value_kind:     hidden_global_offset_x
      - .offset:         96
        .size:           8
        .value_kind:     hidden_global_offset_y
      - .offset:         104
        .size:           8
        .value_kind:     hidden_global_offset_z
      - .offset:         112
        .size:           2
        .value_kind:     hidden_grid_dims
    .group_segment_fixed_size: 72
    .kernarg_segment_align: 8
    .kernarg_segment_size: 304
    .language:       OpenCL C
    .language_version:
      - 2
      - 0
    .max_flat_workgroup_size: 1024
    .name:           _Z30addBiasResidualPostLayerNormV2I14__hip_bfloat16Li64EEvPT_PKS1_S4_S4_S4_fi
    .private_segment_fixed_size: 0
    .sgpr_count:     18
    .sgpr_spill_count: 0
    .symbol:         _Z30addBiasResidualPostLayerNormV2I14__hip_bfloat16Li64EEvPT_PKS1_S4_S4_S4_fi.kd
    .uniform_work_group_size: 1
    .uses_dynamic_stack: false
    .vgpr_count:     29
    .vgpr_spill_count: 0
    .wavefront_size: 32
  - .args:
      - .address_space:  global
        .offset:         0
        .size:           8
        .value_kind:     global_buffer
      - .actual_access:  read_only
        .address_space:  global
        .offset:         8
        .size:           8
        .value_kind:     global_buffer
      - .actual_access:  read_only
        .address_space:  global
        .offset:         16
        .size:           8
        .value_kind:     global_buffer
      - .actual_access:  read_only
        .address_space:  global
        .offset:         24
        .size:           8
        .value_kind:     global_buffer
      - .actual_access:  read_only
        .address_space:  global
        .offset:         32
        .size:           8
        .value_kind:     global_buffer
      - .offset:         40
        .size:           4
        .value_kind:     by_value
      - .offset:         44
        .size:           4
        .value_kind:     by_value
      - .offset:         48
        .size:           4
        .value_kind:     hidden_block_count_x
      - .offset:         52
        .size:           4
        .value_kind:     hidden_block_count_y
      - .offset:         56
        .size:           4
        .value_kind:     hidden_block_count_z
      - .offset:         60
        .size:           2
        .value_kind:     hidden_group_size_x
      - .offset:         62
        .size:           2
        .value_kind:     hidden_group_size_y
      - .offset:         64
        .size:           2
        .value_kind:     hidden_group_size_z
      - .offset:         66
        .size:           2
        .value_kind:     hidden_remainder_x
      - .offset:         68
        .size:           2
        .value_kind:     hidden_remainder_y
      - .offset:         70
        .size:           2
        .value_kind:     hidden_remainder_z
      - .offset:         88
        .size:           8
        .value_kind:     hidden_global_offset_x
      - .offset:         96
        .size:           8
        .value_kind:     hidden_global_offset_y
      - .offset:         104
        .size:           8
        .value_kind:     hidden_global_offset_z
      - .offset:         112
        .size:           2
        .value_kind:     hidden_grid_dims
    .group_segment_fixed_size: 136
    .kernarg_segment_align: 8
    .kernarg_segment_size: 304
    .language:       OpenCL C
    .language_version:
      - 2
      - 0
    .max_flat_workgroup_size: 1024
    .name:           _Z30addBiasResidualPostLayerNormV2I14__hip_bfloat16Li32EEvPT_PKS1_S4_S4_S4_fi
    .private_segment_fixed_size: 0
    .sgpr_count:     18
    .sgpr_spill_count: 0
    .symbol:         _Z30addBiasResidualPostLayerNormV2I14__hip_bfloat16Li32EEvPT_PKS1_S4_S4_S4_fi.kd
    .uniform_work_group_size: 1
    .uses_dynamic_stack: false
    .vgpr_count:     34
    .vgpr_spill_count: 0
    .wavefront_size: 32
  - .args:
      - .address_space:  global
        .offset:         0
        .size:           8
        .value_kind:     global_buffer
      - .actual_access:  read_only
        .address_space:  global
        .offset:         8
        .size:           8
        .value_kind:     global_buffer
      - .actual_access:  read_only
        .address_space:  global
        .offset:         16
        .size:           8
        .value_kind:     global_buffer
      - .actual_access:  read_only
        .address_space:  global
        .offset:         24
        .size:           8
        .value_kind:     global_buffer
      - .actual_access:  read_only
        .address_space:  global
        .offset:         32
        .size:           8
        .value_kind:     global_buffer
      - .offset:         40
        .size:           4
        .value_kind:     by_value
      - .offset:         44
        .size:           4
        .value_kind:     by_value
      - .offset:         48
        .size:           4
        .value_kind:     hidden_block_count_x
      - .offset:         52
        .size:           4
        .value_kind:     hidden_block_count_y
      - .offset:         56
        .size:           4
        .value_kind:     hidden_block_count_z
      - .offset:         60
        .size:           2
        .value_kind:     hidden_group_size_x
      - .offset:         62
        .size:           2
        .value_kind:     hidden_group_size_y
      - .offset:         64
        .size:           2
        .value_kind:     hidden_group_size_z
      - .offset:         66
        .size:           2
        .value_kind:     hidden_remainder_x
      - .offset:         68
        .size:           2
        .value_kind:     hidden_remainder_y
      - .offset:         70
        .size:           2
        .value_kind:     hidden_remainder_z
      - .offset:         88
        .size:           8
        .value_kind:     hidden_global_offset_x
      - .offset:         96
        .size:           8
        .value_kind:     hidden_global_offset_y
      - .offset:         104
        .size:           8
        .value_kind:     hidden_global_offset_z
      - .offset:         112
        .size:           2
        .value_kind:     hidden_grid_dims
    .group_segment_fixed_size: 72
    .kernarg_segment_align: 8
    .kernarg_segment_size: 304
    .language:       OpenCL C
    .language_version:
      - 2
      - 0
    .max_flat_workgroup_size: 1024
    .name:           _Z28addBiasResidualPostLayerNormI14__hip_bfloat16Li1ELi64EEvPT_PKS1_S4_S4_S4_fi
    .private_segment_fixed_size: 0
    .sgpr_count:     18
    .sgpr_spill_count: 0
    .symbol:         _Z28addBiasResidualPostLayerNormI14__hip_bfloat16Li1ELi64EEvPT_PKS1_S4_S4_S4_fi.kd
    .uniform_work_group_size: 1
    .uses_dynamic_stack: false
    .vgpr_count:     16
    .vgpr_spill_count: 0
    .wavefront_size: 32
  - .args:
      - .address_space:  global
        .offset:         0
        .size:           8
        .value_kind:     global_buffer
      - .actual_access:  read_only
        .address_space:  global
        .offset:         8
        .size:           8
        .value_kind:     global_buffer
      - .actual_access:  read_only
        .address_space:  global
        .offset:         16
        .size:           8
        .value_kind:     global_buffer
      - .actual_access:  read_only
        .address_space:  global
        .offset:         24
        .size:           8
        .value_kind:     global_buffer
      - .actual_access:  read_only
        .address_space:  global
        .offset:         32
        .size:           8
        .value_kind:     global_buffer
      - .offset:         40
        .size:           4
        .value_kind:     by_value
      - .offset:         44
        .size:           4
        .value_kind:     by_value
      - .offset:         48
        .size:           4
        .value_kind:     hidden_block_count_x
      - .offset:         52
        .size:           4
        .value_kind:     hidden_block_count_y
      - .offset:         56
        .size:           4
        .value_kind:     hidden_block_count_z
      - .offset:         60
        .size:           2
        .value_kind:     hidden_group_size_x
      - .offset:         62
        .size:           2
        .value_kind:     hidden_group_size_y
      - .offset:         64
        .size:           2
        .value_kind:     hidden_group_size_z
      - .offset:         66
        .size:           2
        .value_kind:     hidden_remainder_x
      - .offset:         68
        .size:           2
        .value_kind:     hidden_remainder_y
      - .offset:         70
        .size:           2
        .value_kind:     hidden_remainder_z
      - .offset:         88
        .size:           8
        .value_kind:     hidden_global_offset_x
      - .offset:         96
        .size:           8
        .value_kind:     hidden_global_offset_y
      - .offset:         104
        .size:           8
        .value_kind:     hidden_global_offset_z
      - .offset:         112
        .size:           2
        .value_kind:     hidden_grid_dims
    .group_segment_fixed_size: 72
    .kernarg_segment_align: 8
    .kernarg_segment_size: 304
    .language:       OpenCL C
    .language_version:
      - 2
      - 0
    .max_flat_workgroup_size: 1024
    .name:           _Z28addBiasResidualPostLayerNormI14__hip_bfloat16Li2ELi64EEvPT_PKS1_S4_S4_S4_fi
    .private_segment_fixed_size: 0
    .sgpr_count:     19
    .sgpr_spill_count: 0
    .symbol:         _Z28addBiasResidualPostLayerNormI14__hip_bfloat16Li2ELi64EEvPT_PKS1_S4_S4_S4_fi.kd
    .uniform_work_group_size: 1
    .uses_dynamic_stack: false
    .vgpr_count:     17
    .vgpr_spill_count: 0
    .wavefront_size: 32
  - .args:
      - .address_space:  global
        .offset:         0
        .size:           8
        .value_kind:     global_buffer
      - .actual_access:  read_only
        .address_space:  global
        .offset:         8
        .size:           8
        .value_kind:     global_buffer
      - .actual_access:  read_only
        .address_space:  global
        .offset:         16
        .size:           8
        .value_kind:     global_buffer
      - .actual_access:  read_only
        .address_space:  global
        .offset:         24
        .size:           8
        .value_kind:     global_buffer
      - .actual_access:  read_only
        .address_space:  global
        .offset:         32
        .size:           8
        .value_kind:     global_buffer
      - .offset:         40
        .size:           4
        .value_kind:     by_value
      - .offset:         44
        .size:           4
        .value_kind:     by_value
      - .offset:         48
        .size:           4
        .value_kind:     hidden_block_count_x
      - .offset:         52
        .size:           4
        .value_kind:     hidden_block_count_y
      - .offset:         56
        .size:           4
        .value_kind:     hidden_block_count_z
      - .offset:         60
        .size:           2
        .value_kind:     hidden_group_size_x
      - .offset:         62
        .size:           2
        .value_kind:     hidden_group_size_y
      - .offset:         64
        .size:           2
        .value_kind:     hidden_group_size_z
      - .offset:         66
        .size:           2
        .value_kind:     hidden_remainder_x
      - .offset:         68
        .size:           2
        .value_kind:     hidden_remainder_y
      - .offset:         70
        .size:           2
        .value_kind:     hidden_remainder_z
      - .offset:         88
        .size:           8
        .value_kind:     hidden_global_offset_x
      - .offset:         96
        .size:           8
        .value_kind:     hidden_global_offset_y
      - .offset:         104
        .size:           8
        .value_kind:     hidden_global_offset_z
      - .offset:         112
        .size:           2
        .value_kind:     hidden_grid_dims
    .group_segment_fixed_size: 72
    .kernarg_segment_align: 8
    .kernarg_segment_size: 304
    .language:       OpenCL C
    .language_version:
      - 2
      - 0
    .max_flat_workgroup_size: 1024
    .name:           _Z35generalAddBiasResidualPostLayerNormI14__hip_bfloat16Li64EEvPT_PKS1_S4_S4_S4_fi
    .private_segment_fixed_size: 0
    .sgpr_count:     20
    .sgpr_spill_count: 0
    .symbol:         _Z35generalAddBiasResidualPostLayerNormI14__hip_bfloat16Li64EEvPT_PKS1_S4_S4_S4_fi.kd
    .uniform_work_group_size: 1
    .uses_dynamic_stack: false
    .vgpr_count:     29
    .vgpr_spill_count: 0
    .wavefront_size: 32
  - .args:
      - .address_space:  global
        .offset:         0
        .size:           8
        .value_kind:     global_buffer
      - .actual_access:  read_only
        .address_space:  global
        .offset:         8
        .size:           8
        .value_kind:     global_buffer
      - .actual_access:  read_only
        .address_space:  global
        .offset:         16
        .size:           8
        .value_kind:     global_buffer
      - .actual_access:  read_only
        .address_space:  global
        .offset:         24
        .size:           8
        .value_kind:     global_buffer
      - .actual_access:  read_only
        .address_space:  global
        .offset:         32
        .size:           8
        .value_kind:     global_buffer
      - .offset:         40
        .size:           4
        .value_kind:     by_value
      - .offset:         44
        .size:           4
        .value_kind:     by_value
      - .offset:         48
        .size:           4
        .value_kind:     hidden_block_count_x
      - .offset:         52
        .size:           4
        .value_kind:     hidden_block_count_y
      - .offset:         56
        .size:           4
        .value_kind:     hidden_block_count_z
      - .offset:         60
        .size:           2
        .value_kind:     hidden_group_size_x
      - .offset:         62
        .size:           2
        .value_kind:     hidden_group_size_y
      - .offset:         64
        .size:           2
        .value_kind:     hidden_group_size_z
      - .offset:         66
        .size:           2
        .value_kind:     hidden_remainder_x
      - .offset:         68
        .size:           2
        .value_kind:     hidden_remainder_y
      - .offset:         70
        .size:           2
        .value_kind:     hidden_remainder_z
      - .offset:         88
        .size:           8
        .value_kind:     hidden_global_offset_x
      - .offset:         96
        .size:           8
        .value_kind:     hidden_global_offset_y
      - .offset:         104
        .size:           8
        .value_kind:     hidden_global_offset_z
      - .offset:         112
        .size:           2
        .value_kind:     hidden_grid_dims
    .group_segment_fixed_size: 136
    .kernarg_segment_align: 8
    .kernarg_segment_size: 304
    .language:       OpenCL C
    .language_version:
      - 2
      - 0
    .max_flat_workgroup_size: 1024
    .name:           _Z28addBiasResidualPostLayerNormI14__hip_bfloat16Li1ELi32EEvPT_PKS1_S4_S4_S4_fi
    .private_segment_fixed_size: 0
    .sgpr_count:     18
    .sgpr_spill_count: 0
    .symbol:         _Z28addBiasResidualPostLayerNormI14__hip_bfloat16Li1ELi32EEvPT_PKS1_S4_S4_S4_fi.kd
    .uniform_work_group_size: 1
    .uses_dynamic_stack: false
    .vgpr_count:     15
    .vgpr_spill_count: 0
    .wavefront_size: 32
  - .args:
      - .address_space:  global
        .offset:         0
        .size:           8
        .value_kind:     global_buffer
      - .actual_access:  read_only
        .address_space:  global
        .offset:         8
        .size:           8
        .value_kind:     global_buffer
      - .actual_access:  read_only
        .address_space:  global
        .offset:         16
        .size:           8
        .value_kind:     global_buffer
      - .actual_access:  read_only
        .address_space:  global
        .offset:         24
        .size:           8
        .value_kind:     global_buffer
      - .actual_access:  read_only
        .address_space:  global
        .offset:         32
        .size:           8
        .value_kind:     global_buffer
      - .offset:         40
        .size:           4
        .value_kind:     by_value
      - .offset:         44
        .size:           4
        .value_kind:     by_value
      - .offset:         48
        .size:           4
        .value_kind:     hidden_block_count_x
      - .offset:         52
        .size:           4
        .value_kind:     hidden_block_count_y
      - .offset:         56
        .size:           4
        .value_kind:     hidden_block_count_z
      - .offset:         60
        .size:           2
        .value_kind:     hidden_group_size_x
      - .offset:         62
        .size:           2
        .value_kind:     hidden_group_size_y
      - .offset:         64
        .size:           2
        .value_kind:     hidden_group_size_z
      - .offset:         66
        .size:           2
        .value_kind:     hidden_remainder_x
      - .offset:         68
        .size:           2
        .value_kind:     hidden_remainder_y
      - .offset:         70
        .size:           2
        .value_kind:     hidden_remainder_z
      - .offset:         88
        .size:           8
        .value_kind:     hidden_global_offset_x
      - .offset:         96
        .size:           8
        .value_kind:     hidden_global_offset_y
      - .offset:         104
        .size:           8
        .value_kind:     hidden_global_offset_z
      - .offset:         112
        .size:           2
        .value_kind:     hidden_grid_dims
    .group_segment_fixed_size: 136
    .kernarg_segment_align: 8
    .kernarg_segment_size: 304
    .language:       OpenCL C
    .language_version:
      - 2
      - 0
    .max_flat_workgroup_size: 1024
    .name:           _Z28addBiasResidualPostLayerNormI14__hip_bfloat16Li2ELi32EEvPT_PKS1_S4_S4_S4_fi
    .private_segment_fixed_size: 0
    .sgpr_count:     19
    .sgpr_spill_count: 0
    .symbol:         _Z28addBiasResidualPostLayerNormI14__hip_bfloat16Li2ELi32EEvPT_PKS1_S4_S4_S4_fi.kd
    .uniform_work_group_size: 1
    .uses_dynamic_stack: false
    .vgpr_count:     16
    .vgpr_spill_count: 0
    .wavefront_size: 32
  - .args:
      - .address_space:  global
        .offset:         0
        .size:           8
        .value_kind:     global_buffer
      - .actual_access:  read_only
        .address_space:  global
        .offset:         8
        .size:           8
        .value_kind:     global_buffer
      - .actual_access:  read_only
        .address_space:  global
        .offset:         16
        .size:           8
        .value_kind:     global_buffer
      - .actual_access:  read_only
        .address_space:  global
        .offset:         24
        .size:           8
        .value_kind:     global_buffer
      - .actual_access:  read_only
        .address_space:  global
        .offset:         32
        .size:           8
        .value_kind:     global_buffer
      - .offset:         40
        .size:           4
        .value_kind:     by_value
      - .offset:         44
        .size:           4
        .value_kind:     by_value
      - .offset:         48
        .size:           4
        .value_kind:     hidden_block_count_x
      - .offset:         52
        .size:           4
        .value_kind:     hidden_block_count_y
      - .offset:         56
        .size:           4
        .value_kind:     hidden_block_count_z
      - .offset:         60
        .size:           2
        .value_kind:     hidden_group_size_x
      - .offset:         62
        .size:           2
        .value_kind:     hidden_group_size_y
      - .offset:         64
        .size:           2
        .value_kind:     hidden_group_size_z
      - .offset:         66
        .size:           2
        .value_kind:     hidden_remainder_x
      - .offset:         68
        .size:           2
        .value_kind:     hidden_remainder_y
      - .offset:         70
        .size:           2
        .value_kind:     hidden_remainder_z
      - .offset:         88
        .size:           8
        .value_kind:     hidden_global_offset_x
      - .offset:         96
        .size:           8
        .value_kind:     hidden_global_offset_y
      - .offset:         104
        .size:           8
        .value_kind:     hidden_global_offset_z
      - .offset:         112
        .size:           2
        .value_kind:     hidden_grid_dims
    .group_segment_fixed_size: 136
    .kernarg_segment_align: 8
    .kernarg_segment_size: 304
    .language:       OpenCL C
    .language_version:
      - 2
      - 0
    .max_flat_workgroup_size: 1024
    .name:           _Z35generalAddBiasResidualPostLayerNormI14__hip_bfloat16Li32EEvPT_PKS1_S4_S4_S4_fi
    .private_segment_fixed_size: 0
    .sgpr_count:     20
    .sgpr_spill_count: 0
    .symbol:         _Z35generalAddBiasResidualPostLayerNormI14__hip_bfloat16Li32EEvPT_PKS1_S4_S4_S4_fi.kd
    .uniform_work_group_size: 1
    .uses_dynamic_stack: false
    .vgpr_count:     29
    .vgpr_spill_count: 0
    .wavefront_size: 32
amdhsa.target:   amdgcn-amd-amdhsa--gfx1250
amdhsa.version:
  - 1
  - 2
...

	.end_amdgpu_metadata
